;; amdgpu-corpus repo=ROCm/rocFFT kind=compiled arch=gfx1201 opt=O3
	.text
	.amdgcn_target "amdgcn-amd-amdhsa--gfx1201"
	.amdhsa_code_object_version 6
	.protected	fft_rtc_back_len1600_factors_10_16_10_wgs_200_tpt_100_halfLds_sp_op_CI_CI_unitstride_sbrr_dirReg ; -- Begin function fft_rtc_back_len1600_factors_10_16_10_wgs_200_tpt_100_halfLds_sp_op_CI_CI_unitstride_sbrr_dirReg
	.globl	fft_rtc_back_len1600_factors_10_16_10_wgs_200_tpt_100_halfLds_sp_op_CI_CI_unitstride_sbrr_dirReg
	.p2align	8
	.type	fft_rtc_back_len1600_factors_10_16_10_wgs_200_tpt_100_halfLds_sp_op_CI_CI_unitstride_sbrr_dirReg,@function
fft_rtc_back_len1600_factors_10_16_10_wgs_200_tpt_100_halfLds_sp_op_CI_CI_unitstride_sbrr_dirReg: ; @fft_rtc_back_len1600_factors_10_16_10_wgs_200_tpt_100_halfLds_sp_op_CI_CI_unitstride_sbrr_dirReg
; %bb.0:
	s_clause 0x2
	s_load_b128 s[4:7], s[0:1], 0x0
	s_load_b128 s[8:11], s[0:1], 0x58
	;; [unrolled: 1-line block ×3, first 2 shown]
	v_mul_u32_u24_e32 v1, 0x290, v0
	v_mov_b32_e32 v8, 0
	v_mov_b32_e32 v9, 0
	s_delay_alu instid0(VALU_DEP_3) | instskip(SKIP_1) | instid1(VALU_DEP_2)
	v_lshrrev_b32_e32 v48, 16, v1
	v_mov_b32_e32 v1, 0
	v_lshl_add_u32 v10, ttmp9, 1, v48
	s_delay_alu instid0(VALU_DEP_2) | instskip(SKIP_2) | instid1(VALU_DEP_1)
	v_mov_b32_e32 v11, v1
	s_wait_kmcnt 0x0
	v_cmp_lt_u64_e64 s2, s[6:7], 2
	s_and_b32 vcc_lo, exec_lo, s2
	s_cbranch_vccnz .LBB0_8
; %bb.1:
	s_load_b64 s[2:3], s[0:1], 0x10
	v_mov_b32_e32 v8, 0
	v_mov_b32_e32 v9, 0
	s_delay_alu instid0(VALU_DEP_2)
	v_mov_b32_e32 v4, v8
	s_add_nc_u64 s[16:17], s[14:15], 8
	s_add_nc_u64 s[18:19], s[12:13], 8
	s_mov_b64 s[20:21], 1
	v_mov_b32_e32 v5, v9
	s_wait_kmcnt 0x0
	s_add_nc_u64 s[22:23], s[2:3], 8
	s_mov_b32 s3, 0
.LBB0_2:                                ; =>This Inner Loop Header: Depth=1
	s_load_b64 s[24:25], s[22:23], 0x0
                                        ; implicit-def: $vgpr6_vgpr7
	s_mov_b32 s2, exec_lo
	s_wait_kmcnt 0x0
	v_or_b32_e32 v2, s25, v11
	s_delay_alu instid0(VALU_DEP_1)
	v_cmpx_ne_u64_e32 0, v[1:2]
	s_wait_alu 0xfffe
	s_xor_b32 s26, exec_lo, s2
	s_cbranch_execz .LBB0_4
; %bb.3:                                ;   in Loop: Header=BB0_2 Depth=1
	s_cvt_f32_u32 s2, s24
	s_cvt_f32_u32 s27, s25
	s_sub_nc_u64 s[30:31], 0, s[24:25]
	s_wait_alu 0xfffe
	s_delay_alu instid0(SALU_CYCLE_1) | instskip(SKIP_1) | instid1(SALU_CYCLE_2)
	s_fmamk_f32 s2, s27, 0x4f800000, s2
	s_wait_alu 0xfffe
	v_s_rcp_f32 s2, s2
	s_delay_alu instid0(TRANS32_DEP_1) | instskip(SKIP_1) | instid1(SALU_CYCLE_2)
	s_mul_f32 s2, s2, 0x5f7ffffc
	s_wait_alu 0xfffe
	s_mul_f32 s27, s2, 0x2f800000
	s_wait_alu 0xfffe
	s_delay_alu instid0(SALU_CYCLE_2) | instskip(SKIP_1) | instid1(SALU_CYCLE_2)
	s_trunc_f32 s27, s27
	s_wait_alu 0xfffe
	s_fmamk_f32 s2, s27, 0xcf800000, s2
	s_cvt_u32_f32 s29, s27
	s_wait_alu 0xfffe
	s_delay_alu instid0(SALU_CYCLE_1) | instskip(SKIP_1) | instid1(SALU_CYCLE_2)
	s_cvt_u32_f32 s28, s2
	s_wait_alu 0xfffe
	s_mul_u64 s[34:35], s[30:31], s[28:29]
	s_wait_alu 0xfffe
	s_mul_hi_u32 s37, s28, s35
	s_mul_i32 s36, s28, s35
	s_mul_hi_u32 s2, s28, s34
	s_mul_i32 s33, s29, s34
	s_wait_alu 0xfffe
	s_add_nc_u64 s[36:37], s[2:3], s[36:37]
	s_mul_hi_u32 s27, s29, s34
	s_mul_hi_u32 s38, s29, s35
	s_add_co_u32 s2, s36, s33
	s_wait_alu 0xfffe
	s_add_co_ci_u32 s2, s37, s27
	s_mul_i32 s34, s29, s35
	s_add_co_ci_u32 s35, s38, 0
	s_wait_alu 0xfffe
	s_add_nc_u64 s[34:35], s[2:3], s[34:35]
	s_wait_alu 0xfffe
	v_add_co_u32 v2, s2, s28, s34
	s_delay_alu instid0(VALU_DEP_1) | instskip(SKIP_1) | instid1(VALU_DEP_1)
	s_cmp_lg_u32 s2, 0
	s_add_co_ci_u32 s29, s29, s35
	v_readfirstlane_b32 s28, v2
	s_wait_alu 0xfffe
	s_delay_alu instid0(VALU_DEP_1)
	s_mul_u64 s[30:31], s[30:31], s[28:29]
	s_wait_alu 0xfffe
	s_mul_hi_u32 s35, s28, s31
	s_mul_i32 s34, s28, s31
	s_mul_hi_u32 s2, s28, s30
	s_mul_i32 s33, s29, s30
	s_wait_alu 0xfffe
	s_add_nc_u64 s[34:35], s[2:3], s[34:35]
	s_mul_hi_u32 s27, s29, s30
	s_mul_hi_u32 s28, s29, s31
	s_wait_alu 0xfffe
	s_add_co_u32 s2, s34, s33
	s_add_co_ci_u32 s2, s35, s27
	s_mul_i32 s30, s29, s31
	s_add_co_ci_u32 s31, s28, 0
	s_wait_alu 0xfffe
	s_add_nc_u64 s[30:31], s[2:3], s[30:31]
	s_wait_alu 0xfffe
	v_add_co_u32 v6, s2, v2, s30
	s_delay_alu instid0(VALU_DEP_1) | instskip(SKIP_1) | instid1(VALU_DEP_1)
	s_cmp_lg_u32 s2, 0
	s_add_co_ci_u32 s2, s29, s31
	v_mul_hi_u32 v14, v10, v6
	s_wait_alu 0xfffe
	v_mad_co_u64_u32 v[2:3], null, v10, s2, 0
	v_mad_co_u64_u32 v[6:7], null, v11, v6, 0
	;; [unrolled: 1-line block ×3, first 2 shown]
	s_delay_alu instid0(VALU_DEP_3) | instskip(SKIP_1) | instid1(VALU_DEP_4)
	v_add_co_u32 v2, vcc_lo, v14, v2
	s_wait_alu 0xfffd
	v_add_co_ci_u32_e32 v3, vcc_lo, 0, v3, vcc_lo
	s_delay_alu instid0(VALU_DEP_2) | instskip(SKIP_1) | instid1(VALU_DEP_2)
	v_add_co_u32 v2, vcc_lo, v2, v6
	s_wait_alu 0xfffd
	v_add_co_ci_u32_e32 v2, vcc_lo, v3, v7, vcc_lo
	s_wait_alu 0xfffd
	v_add_co_ci_u32_e32 v3, vcc_lo, 0, v13, vcc_lo
	s_delay_alu instid0(VALU_DEP_2) | instskip(SKIP_1) | instid1(VALU_DEP_2)
	v_add_co_u32 v6, vcc_lo, v2, v12
	s_wait_alu 0xfffd
	v_add_co_ci_u32_e32 v7, vcc_lo, 0, v3, vcc_lo
	s_delay_alu instid0(VALU_DEP_2) | instskip(SKIP_1) | instid1(VALU_DEP_3)
	v_mul_lo_u32 v12, s25, v6
	v_mad_co_u64_u32 v[2:3], null, s24, v6, 0
	v_mul_lo_u32 v13, s24, v7
	s_delay_alu instid0(VALU_DEP_2) | instskip(NEXT) | instid1(VALU_DEP_2)
	v_sub_co_u32 v2, vcc_lo, v10, v2
	v_add3_u32 v3, v3, v13, v12
	s_delay_alu instid0(VALU_DEP_1) | instskip(SKIP_1) | instid1(VALU_DEP_1)
	v_sub_nc_u32_e32 v12, v11, v3
	s_wait_alu 0xfffd
	v_subrev_co_ci_u32_e64 v12, s2, s25, v12, vcc_lo
	v_add_co_u32 v13, s2, v6, 2
	s_wait_alu 0xf1ff
	v_add_co_ci_u32_e64 v14, s2, 0, v7, s2
	v_sub_co_u32 v15, s2, v2, s24
	v_sub_co_ci_u32_e32 v3, vcc_lo, v11, v3, vcc_lo
	s_wait_alu 0xf1ff
	v_subrev_co_ci_u32_e64 v12, s2, 0, v12, s2
	s_delay_alu instid0(VALU_DEP_3) | instskip(NEXT) | instid1(VALU_DEP_3)
	v_cmp_le_u32_e32 vcc_lo, s24, v15
	v_cmp_eq_u32_e64 s2, s25, v3
	s_wait_alu 0xfffd
	v_cndmask_b32_e64 v15, 0, -1, vcc_lo
	v_cmp_le_u32_e32 vcc_lo, s25, v12
	s_wait_alu 0xfffd
	v_cndmask_b32_e64 v16, 0, -1, vcc_lo
	v_cmp_le_u32_e32 vcc_lo, s24, v2
	;; [unrolled: 3-line block ×3, first 2 shown]
	s_wait_alu 0xfffd
	v_cndmask_b32_e64 v17, 0, -1, vcc_lo
	v_cmp_eq_u32_e32 vcc_lo, s25, v12
	s_wait_alu 0xf1ff
	s_delay_alu instid0(VALU_DEP_2)
	v_cndmask_b32_e64 v2, v17, v2, s2
	s_wait_alu 0xfffd
	v_cndmask_b32_e32 v12, v16, v15, vcc_lo
	v_add_co_u32 v15, vcc_lo, v6, 1
	s_wait_alu 0xfffd
	v_add_co_ci_u32_e32 v16, vcc_lo, 0, v7, vcc_lo
	s_delay_alu instid0(VALU_DEP_3) | instskip(SKIP_1) | instid1(VALU_DEP_2)
	v_cmp_ne_u32_e32 vcc_lo, 0, v12
	s_wait_alu 0xfffd
	v_dual_cndmask_b32 v3, v16, v14 :: v_dual_cndmask_b32 v12, v15, v13
	v_cmp_ne_u32_e32 vcc_lo, 0, v2
	s_wait_alu 0xfffd
	s_delay_alu instid0(VALU_DEP_2)
	v_dual_cndmask_b32 v7, v7, v3 :: v_dual_cndmask_b32 v6, v6, v12
.LBB0_4:                                ;   in Loop: Header=BB0_2 Depth=1
	s_wait_alu 0xfffe
	s_and_not1_saveexec_b32 s2, s26
	s_cbranch_execz .LBB0_6
; %bb.5:                                ;   in Loop: Header=BB0_2 Depth=1
	v_cvt_f32_u32_e32 v2, s24
	s_sub_co_i32 s26, 0, s24
	s_delay_alu instid0(VALU_DEP_1) | instskip(NEXT) | instid1(TRANS32_DEP_1)
	v_rcp_iflag_f32_e32 v2, v2
	v_mul_f32_e32 v2, 0x4f7ffffe, v2
	s_delay_alu instid0(VALU_DEP_1) | instskip(SKIP_1) | instid1(VALU_DEP_1)
	v_cvt_u32_f32_e32 v2, v2
	s_wait_alu 0xfffe
	v_mul_lo_u32 v3, s26, v2
	s_delay_alu instid0(VALU_DEP_1) | instskip(NEXT) | instid1(VALU_DEP_1)
	v_mul_hi_u32 v3, v2, v3
	v_add_nc_u32_e32 v2, v2, v3
	s_delay_alu instid0(VALU_DEP_1) | instskip(NEXT) | instid1(VALU_DEP_1)
	v_mul_hi_u32 v2, v10, v2
	v_mul_lo_u32 v3, v2, s24
	v_add_nc_u32_e32 v6, 1, v2
	s_delay_alu instid0(VALU_DEP_2) | instskip(NEXT) | instid1(VALU_DEP_1)
	v_sub_nc_u32_e32 v3, v10, v3
	v_subrev_nc_u32_e32 v7, s24, v3
	v_cmp_le_u32_e32 vcc_lo, s24, v3
	s_wait_alu 0xfffd
	s_delay_alu instid0(VALU_DEP_2) | instskip(SKIP_1) | instid1(VALU_DEP_2)
	v_cndmask_b32_e32 v3, v3, v7, vcc_lo
	v_dual_mov_b32 v7, v1 :: v_dual_cndmask_b32 v2, v2, v6
	v_cmp_le_u32_e32 vcc_lo, s24, v3
	s_delay_alu instid0(VALU_DEP_2) | instskip(SKIP_1) | instid1(VALU_DEP_1)
	v_add_nc_u32_e32 v6, 1, v2
	s_wait_alu 0xfffd
	v_cndmask_b32_e32 v6, v2, v6, vcc_lo
.LBB0_6:                                ;   in Loop: Header=BB0_2 Depth=1
	s_wait_alu 0xfffe
	s_or_b32 exec_lo, exec_lo, s2
	v_mul_lo_u32 v12, v7, s24
	s_delay_alu instid0(VALU_DEP_2)
	v_mul_lo_u32 v13, v6, s25
	s_load_b64 s[26:27], s[18:19], 0x0
	v_mad_co_u64_u32 v[2:3], null, v6, s24, 0
	s_load_b64 s[24:25], s[16:17], 0x0
	s_add_nc_u64 s[20:21], s[20:21], 1
	s_add_nc_u64 s[16:17], s[16:17], 8
	s_wait_alu 0xfffe
	v_cmp_ge_u64_e64 s2, s[20:21], s[6:7]
	s_add_nc_u64 s[18:19], s[18:19], 8
	s_add_nc_u64 s[22:23], s[22:23], 8
	v_add3_u32 v3, v3, v13, v12
	v_sub_co_u32 v2, vcc_lo, v10, v2
	s_wait_alu 0xfffd
	s_delay_alu instid0(VALU_DEP_2) | instskip(SKIP_2) | instid1(VALU_DEP_1)
	v_sub_co_ci_u32_e32 v3, vcc_lo, v11, v3, vcc_lo
	s_and_b32 vcc_lo, exec_lo, s2
	s_wait_kmcnt 0x0
	v_mul_lo_u32 v10, s26, v3
	v_mul_lo_u32 v11, s27, v2
	v_mad_co_u64_u32 v[8:9], null, s26, v2, v[8:9]
	v_mul_lo_u32 v3, s24, v3
	v_mul_lo_u32 v12, s25, v2
	v_mad_co_u64_u32 v[4:5], null, s24, v2, v[4:5]
	s_delay_alu instid0(VALU_DEP_4) | instskip(NEXT) | instid1(VALU_DEP_2)
	v_add3_u32 v9, v11, v9, v10
	v_add3_u32 v5, v12, v5, v3
	s_wait_alu 0xfffe
	s_cbranch_vccnz .LBB0_9
; %bb.7:                                ;   in Loop: Header=BB0_2 Depth=1
	v_dual_mov_b32 v11, v7 :: v_dual_mov_b32 v10, v6
	s_branch .LBB0_2
.LBB0_8:
	v_dual_mov_b32 v4, v8 :: v_dual_mov_b32 v5, v9
	v_dual_mov_b32 v6, v10 :: v_dual_mov_b32 v7, v11
.LBB0_9:
	s_load_b64 s[0:1], s[0:1], 0x28
	v_mul_hi_u32 v2, 0x28f5c29, v0
	s_lshl_b64 s[6:7], s[6:7], 3
                                        ; implicit-def: $vgpr47
	s_wait_alu 0xfffe
	s_add_nc_u64 s[2:3], s[14:15], s[6:7]
	s_wait_kmcnt 0x0
	v_cmp_gt_u64_e32 vcc_lo, s[0:1], v[6:7]
	v_cmp_le_u64_e64 s0, s[0:1], v[6:7]
	s_delay_alu instid0(VALU_DEP_1)
	s_and_saveexec_b32 s1, s0
	s_wait_alu 0xfffe
	s_xor_b32 s0, exec_lo, s1
; %bb.10:
	v_mul_u32_u24_e32 v1, 0x64, v2
                                        ; implicit-def: $vgpr2
                                        ; implicit-def: $vgpr8_vgpr9
	s_delay_alu instid0(VALU_DEP_1)
	v_sub_nc_u32_e32 v47, v0, v1
                                        ; implicit-def: $vgpr0
; %bb.11:
	s_wait_alu 0xfffe
	s_or_saveexec_b32 s1, s0
	s_load_b64 s[2:3], s[2:3], 0x0
                                        ; implicit-def: $vgpr12
                                        ; implicit-def: $vgpr14
                                        ; implicit-def: $vgpr44
                                        ; implicit-def: $vgpr40
                                        ; implicit-def: $vgpr46
                                        ; implicit-def: $vgpr38
                                        ; implicit-def: $vgpr34
                                        ; implicit-def: $vgpr36
                                        ; implicit-def: $vgpr42
                                        ; implicit-def: $vgpr32
                                        ; implicit-def: $vgpr20
                                        ; implicit-def: $vgpr16
                                        ; implicit-def: $vgpr30
                                        ; implicit-def: $vgpr26
                                        ; implicit-def: $vgpr28
                                        ; implicit-def: $vgpr24
                                        ; implicit-def: $vgpr18
                                        ; implicit-def: $vgpr3
                                        ; implicit-def: $vgpr1
                                        ; implicit-def: $vgpr22
	s_xor_b32 exec_lo, exec_lo, s1
	s_cbranch_execz .LBB0_15
; %bb.12:
	s_add_nc_u64 s[6:7], s[12:13], s[6:7]
	v_lshlrev_b64_e32 v[8:9], 3, v[8:9]
	s_load_b64 s[6:7], s[6:7], 0x0
                                        ; implicit-def: $vgpr21
                                        ; implicit-def: $vgpr17
                                        ; implicit-def: $vgpr23
                                        ; implicit-def: $vgpr27
                                        ; implicit-def: $vgpr25
                                        ; implicit-def: $vgpr29
                                        ; implicit-def: $vgpr15
                                        ; implicit-def: $vgpr19
	s_wait_kmcnt 0x0
	v_mul_lo_u32 v1, s7, v6
	v_mul_lo_u32 v3, s6, v7
	v_mad_co_u64_u32 v[10:11], null, s6, v6, 0
	s_mov_b32 s6, exec_lo
	s_delay_alu instid0(VALU_DEP_1) | instskip(SKIP_1) | instid1(VALU_DEP_2)
	v_add3_u32 v11, v11, v3, v1
	v_mul_u32_u24_e32 v3, 0x64, v2
	v_lshlrev_b64_e32 v[1:2], 3, v[10:11]
	s_delay_alu instid0(VALU_DEP_2) | instskip(NEXT) | instid1(VALU_DEP_2)
	v_sub_nc_u32_e32 v47, v0, v3
	v_add_co_u32 v0, s0, s8, v1
	s_wait_alu 0xf1ff
	s_delay_alu instid0(VALU_DEP_3) | instskip(NEXT) | instid1(VALU_DEP_3)
	v_add_co_ci_u32_e64 v1, s0, s9, v2, s0
	v_lshlrev_b32_e32 v2, 3, v47
	s_delay_alu instid0(VALU_DEP_3) | instskip(SKIP_1) | instid1(VALU_DEP_3)
	v_add_co_u32 v0, s0, v0, v8
	s_wait_alu 0xf1ff
	v_add_co_ci_u32_e64 v1, s0, v1, v9, s0
	s_delay_alu instid0(VALU_DEP_2) | instskip(SKIP_1) | instid1(VALU_DEP_2)
	v_add_co_u32 v8, s0, v0, v2
	s_wait_alu 0xf1ff
	v_add_co_ci_u32_e64 v9, s0, 0, v1, s0
                                        ; implicit-def: $vgpr0
                                        ; implicit-def: $vgpr2
	s_clause 0x9
	global_load_b64 v[11:12], v[8:9], off
	global_load_b64 v[13:14], v[8:9], off offset:1280
	global_load_b64 v[43:44], v[8:9], off offset:2560
	;; [unrolled: 1-line block ×9, first 2 shown]
	v_cmpx_gt_u32_e32 60, v47
; %bb.13:
	s_clause 0x9
	global_load_b64 v[19:20], v[8:9], off offset:800
	global_load_b64 v[15:16], v[8:9], off offset:2080
	;; [unrolled: 1-line block ×10, first 2 shown]
; %bb.14:
	s_wait_alu 0xfffe
	s_or_b32 exec_lo, exec_lo, s6
.LBB0_15:
	s_delay_alu instid0(SALU_CYCLE_1)
	s_or_b32 exec_lo, exec_lo, s1
	s_wait_loadcnt 0x3
	v_dual_add_f32 v8, v45, v33 :: v_dual_and_b32 v9, 1, v48
	s_wait_loadcnt 0x1
	v_dual_add_f32 v10, v11, v43 :: v_dual_sub_f32 v51, v44, v42
	v_dual_sub_f32 v50, v46, v34 :: v_dual_sub_f32 v49, v41, v33
	s_delay_alu instid0(VALU_DEP_3) | instskip(NEXT) | instid1(VALU_DEP_3)
	v_fma_f32 v8, -0.5, v8, v11
	v_add_f32_e32 v10, v10, v45
	v_add_f32_e32 v52, v43, v41
	v_cmp_eq_u32_e64 s0, 1, v9
	v_dual_add_f32 v56, v13, v39 :: v_dual_sub_f32 v57, v39, v37
	v_fmamk_f32 v53, v51, 0xbf737871, v8
	v_sub_f32_e32 v48, v43, v45
	v_dual_add_f32 v10, v10, v33 :: v_dual_fmac_f32 v11, -0.5, v52
	s_delay_alu instid0(VALU_DEP_3) | instskip(NEXT) | instid1(VALU_DEP_3)
	v_dual_sub_f32 v52, v45, v43 :: v_dual_fmac_f32 v53, 0xbf167918, v50
	v_dual_fmac_f32 v8, 0x3f737871, v51 :: v_dual_add_f32 v49, v48, v49
	s_delay_alu instid0(VALU_DEP_3) | instskip(NEXT) | instid1(VALU_DEP_4)
	v_dual_add_f32 v9, v10, v41 :: v_dual_add_f32 v10, v37, v35
	v_dual_fmamk_f32 v54, v50, 0x3f737871, v11 :: v_dual_sub_f32 v55, v33, v41
	s_delay_alu instid0(VALU_DEP_3) | instskip(NEXT) | instid1(VALU_DEP_4)
	v_fmac_f32_e32 v8, 0x3f167918, v50
	v_fmac_f32_e32 v53, 0x3e9e377a, v49
	v_fmac_f32_e32 v11, 0xbf737871, v50
	s_wait_loadcnt 0x0
	v_dual_sub_f32 v67, v3, v24 :: v_dual_add_f32 v52, v52, v55
	v_add_f32_e32 v55, v56, v37
	v_fmac_f32_e32 v8, 0x3e9e377a, v49
	v_fma_f32 v49, -0.5, v10, v13
	v_dual_sub_f32 v10, v40, v32 :: v_dual_fmac_f32 v11, 0x3f167918, v51
	s_wait_alu 0xf1ff
	v_cndmask_b32_e64 v48, 0, 0x640, s0
	v_sub_f32_e32 v59, v35, v31
	v_cmp_gt_u32_e64 s0, 60, v47
	v_fmamk_f32 v50, v10, 0xbf737871, v49
	v_dual_fmac_f32 v49, 0x3f737871, v10 :: v_dual_sub_f32 v58, v31, v35
	v_fmac_f32_e32 v11, 0x3e9e377a, v52
	v_fmac_f32_e32 v54, 0xbf167918, v51
	v_add_f32_e32 v51, v55, v35
	v_add_f32_e32 v55, v39, v31
	v_dual_add_f32 v57, v57, v58 :: v_dual_sub_f32 v56, v38, v36
	s_delay_alu instid0(VALU_DEP_4) | instskip(NEXT) | instid1(VALU_DEP_3)
	v_fmac_f32_e32 v54, 0x3e9e377a, v52
	v_dual_sub_f32 v66, v22, v26 :: v_dual_fmac_f32 v13, -0.5, v55
	s_delay_alu instid0(VALU_DEP_3) | instskip(SKIP_2) | instid1(VALU_DEP_4)
	v_dual_add_f32 v55, v51, v31 :: v_dual_fmac_f32 v50, 0xbf167918, v56
	v_dual_add_f32 v51, v38, v36 :: v_dual_sub_f32 v58, v37, v39
	v_fmac_f32_e32 v49, 0x3f167918, v56
	v_dual_fmamk_f32 v52, v56, 0x3f737871, v13 :: v_dual_sub_f32 v37, v37, v35
	s_delay_alu instid0(VALU_DEP_4) | instskip(NEXT) | instid1(VALU_DEP_4)
	v_fmac_f32_e32 v50, 0x3e9e377a, v57
	v_fma_f32 v51, -0.5, v51, v14
	v_dual_sub_f32 v60, v39, v31 :: v_dual_fmac_f32 v13, 0xbf737871, v56
	s_delay_alu instid0(VALU_DEP_4) | instskip(NEXT) | instid1(VALU_DEP_2)
	v_dual_fmac_f32 v52, 0xbf167918, v10 :: v_dual_add_f32 v31, v40, v32
	v_dual_add_f32 v58, v58, v59 :: v_dual_fmamk_f32 v39, v60, 0x3f737871, v51
	s_delay_alu instid0(VALU_DEP_3) | instskip(NEXT) | instid1(VALU_DEP_3)
	v_dual_fmac_f32 v13, 0x3f167918, v10 :: v_dual_sub_f32 v56, v32, v36
	v_fma_f32 v35, -0.5, v31, v14
	s_delay_alu instid0(VALU_DEP_3) | instskip(SKIP_2) | instid1(VALU_DEP_3)
	v_dual_sub_f32 v10, v40, v38 :: v_dual_fmac_f32 v39, 0x3f167918, v37
	v_fmac_f32_e32 v51, 0xbf737871, v60
	v_dual_fmac_f32 v49, 0x3e9e377a, v57 :: v_dual_fmac_f32 v52, 0x3e9e377a, v58
	v_dual_fmamk_f32 v31, v37, 0xbf737871, v35 :: v_dual_add_f32 v10, v10, v56
	s_delay_alu instid0(VALU_DEP_3) | instskip(SKIP_2) | instid1(VALU_DEP_4)
	v_fmac_f32_e32 v51, 0xbf167918, v37
	v_dual_fmac_f32 v13, 0x3e9e377a, v58 :: v_dual_add_f32 v58, v27, v0
	v_dual_sub_f32 v57, v38, v40 :: v_dual_add_f32 v70, v9, v55
	v_fmac_f32_e32 v31, 0x3f167918, v60
	v_fmac_f32_e32 v39, 0x3e9e377a, v10
	v_sub_f32_e32 v59, v36, v32
	v_fma_f32 v62, -0.5, v58, v19
	v_sub_f32_e32 v58, v30, v18
	v_fmac_f32_e32 v51, 0x3e9e377a, v10
	v_mul_f32_e32 v10, 0xbf167918, v39
	v_dual_fmac_f32 v35, 0x3f737871, v37 :: v_dual_add_f32 v56, v57, v59
	s_delay_alu instid0(VALU_DEP_4)
	v_fmamk_f32 v63, v58, 0xbf737871, v62
	v_dual_sub_f32 v59, v28, v1 :: v_dual_fmac_f32 v62, 0x3f737871, v58
	v_sub_f32_e32 v61, v17, v0
	v_sub_f32_e32 v75, v9, v55
	v_mul_f32_e32 v57, 0xbf167918, v51
	v_fmac_f32_e32 v10, 0x3f4f1bbd, v50
	v_dual_fmac_f32 v62, 0x3f167918, v59 :: v_dual_add_f32 v9, v29, v17
	v_fmac_f32_e32 v31, 0x3e9e377a, v56
	s_delay_alu instid0(VALU_DEP_3) | instskip(SKIP_1) | instid1(VALU_DEP_4)
	v_dual_fmac_f32 v57, 0xbf4f1bbd, v49 :: v_dual_sub_f32 v76, v53, v10
	v_fmac_f32_e32 v63, 0xbf167918, v59
	v_fma_f32 v64, -0.5, v9, v19
	s_delay_alu instid0(VALU_DEP_4) | instskip(NEXT) | instid1(VALU_DEP_4)
	v_mul_f32_e32 v37, 0xbf737871, v31
	v_dual_add_f32 v71, v53, v10 :: v_dual_add_f32 v74, v8, v57
	v_sub_f32_e32 v79, v8, v57
	s_delay_alu instid0(VALU_DEP_4) | instskip(SKIP_3) | instid1(VALU_DEP_4)
	v_fmamk_f32 v65, v59, 0x3f737871, v64
	v_fmac_f32_e32 v64, 0xbf737871, v59
	v_dual_add_f32 v8, v2, v21 :: v_dual_fmac_f32 v37, 0x3e9e377a, v52
	v_add_f32_e32 v59, v26, v24
	v_fmac_f32_e32 v65, 0xbf167918, v58
	s_delay_alu instid0(VALU_DEP_4)
	v_fmac_f32_e32 v64, 0x3f167918, v58
	v_dual_sub_f32 v58, v22, v3 :: v_dual_fmac_f32 v35, 0xbf167918, v60
	v_add_f32_e32 v72, v54, v37
	v_sub_f32_e32 v60, v29, v27
	v_fma_f32 v59, -0.5, v59, v16
	v_fma_f32 v53, -0.5, v8, v15
	v_fmac_f32_e32 v35, 0x3e9e377a, v56
	v_sub_f32_e32 v8, v26, v24
	v_add_f32_e32 v10, v60, v61
	v_sub_f32_e32 v61, v24, v3
	s_delay_alu instid0(VALU_DEP_4)
	v_dual_sub_f32 v9, v27, v29 :: v_dual_mul_f32 v56, 0xbf737871, v35
	v_sub_f32_e32 v77, v54, v37
	v_fmamk_f32 v37, v8, 0xbf737871, v53
	v_fmac_f32_e32 v53, 0x3f737871, v8
	v_fmac_f32_e32 v62, 0x3e9e377a, v10
	;; [unrolled: 1-line block ×3, first 2 shown]
	s_delay_alu instid0(VALU_DEP_4) | instskip(NEXT) | instid1(VALU_DEP_4)
	v_fmac_f32_e32 v37, 0xbf167918, v58
	v_fmac_f32_e32 v53, 0x3f167918, v58
	s_delay_alu instid0(VALU_DEP_3) | instskip(SKIP_2) | instid1(VALU_DEP_2)
	v_add_f32_e32 v73, v11, v56
	v_dual_sub_f32 v78, v11, v56 :: v_dual_sub_f32 v11, v0, v17
	v_sub_f32_e32 v56, v2, v23
	v_add_f32_e32 v9, v9, v11
	s_delay_alu instid0(VALU_DEP_1) | instskip(NEXT) | instid1(VALU_DEP_1)
	v_dual_add_f32 v11, v25, v23 :: v_dual_fmac_f32 v64, 0x3e9e377a, v9
	v_fma_f32 v54, -0.5, v11, v15
	s_delay_alu instid0(VALU_DEP_1) | instskip(SKIP_3) | instid1(VALU_DEP_4)
	v_fmamk_f32 v55, v58, 0x3f737871, v54
	v_fmac_f32_e32 v54, 0xbf737871, v58
	v_sub_f32_e32 v58, v26, v22
	v_fmac_f32_e32 v63, 0x3e9e377a, v10
	v_dual_sub_f32 v10, v23, v2 :: v_dual_fmac_f32 v55, 0xbf167918, v8
	s_delay_alu instid0(VALU_DEP_4)
	v_fmac_f32_e32 v54, 0x3f167918, v8
	v_fmac_f32_e32 v65, 0x3e9e377a, v9
	v_sub_f32_e32 v9, v25, v21
	v_add_f32_e32 v58, v61, v58
	v_sub_f32_e32 v11, v21, v25
	v_add_f32_e32 v61, v67, v66
	v_mul_u32_u24_e32 v8, 10, v47
	s_delay_alu instid0(VALU_DEP_3) | instskip(NEXT) | instid1(VALU_DEP_1)
	v_dual_add_f32 v9, v10, v9 :: v_dual_add_f32 v10, v56, v11
	v_fmac_f32_e32 v37, 0x3e9e377a, v9
	v_fmac_f32_e32 v53, 0x3e9e377a, v9
	v_sub_f32_e32 v9, v21, v2
	v_sub_f32_e32 v11, v25, v23
	v_fmac_f32_e32 v55, 0x3e9e377a, v10
	v_fmac_f32_e32 v54, 0x3e9e377a, v10
	s_delay_alu instid0(VALU_DEP_4) | instskip(SKIP_1) | instid1(VALU_DEP_2)
	v_fmamk_f32 v60, v9, 0xbf737871, v59
	v_fmac_f32_e32 v59, 0x3f737871, v9
	v_dual_fmac_f32 v60, 0x3f167918, v11 :: v_dual_add_f32 v57, v3, v22
	s_delay_alu instid0(VALU_DEP_1) | instskip(NEXT) | instid1(VALU_DEP_2)
	v_fmac_f32_e32 v60, 0x3e9e377a, v61
	v_fma_f32 v56, -0.5, v57, v16
	s_delay_alu instid0(VALU_DEP_2) | instskip(NEXT) | instid1(VALU_DEP_2)
	v_mul_f32_e32 v67, 0xbf737871, v60
	v_fmamk_f32 v57, v11, 0x3f737871, v56
	s_delay_alu instid0(VALU_DEP_2) | instskip(NEXT) | instid1(VALU_DEP_2)
	v_fmac_f32_e32 v67, 0x3e9e377a, v55
	v_fmac_f32_e32 v57, 0x3f167918, v9
	s_delay_alu instid0(VALU_DEP_1) | instskip(NEXT) | instid1(VALU_DEP_1)
	v_fmac_f32_e32 v57, 0x3e9e377a, v58
	v_mul_f32_e32 v66, 0xbf167918, v57
	s_delay_alu instid0(VALU_DEP_1) | instskip(SKIP_2) | instid1(VALU_DEP_3)
	v_fmac_f32_e32 v66, 0x3f4f1bbd, v37
	v_fmac_f32_e32 v56, 0xbf737871, v11
	;; [unrolled: 1-line block ×3, first 2 shown]
	v_dual_sub_f32 v11, v65, v67 :: v_dual_sub_f32 v10, v63, v66
	s_delay_alu instid0(VALU_DEP_3) | instskip(NEXT) | instid1(VALU_DEP_3)
	v_fmac_f32_e32 v56, 0xbf167918, v9
	v_fmac_f32_e32 v59, 0x3e9e377a, v61
	v_lshl_add_u32 v61, v8, 2, 0
	s_delay_alu instid0(VALU_DEP_3) | instskip(NEXT) | instid1(VALU_DEP_3)
	v_fmac_f32_e32 v56, 0x3e9e377a, v58
	v_mul_f32_e32 v68, 0xbf737871, v59
	s_delay_alu instid0(VALU_DEP_3)
	v_lshl_add_u32 v58, v48, 2, v61
	ds_store_2addr_b64 v58, v[70:71], v[72:73] offset1:1
	ds_store_2addr_b64 v58, v[74:75], v[76:77] offset0:2 offset1:3
	ds_store_b64 v58, v[78:79] offset:32
	v_mul_f32_e32 v69, 0xbf167918, v56
	v_fmac_f32_e32 v68, 0xbe9e377a, v54
	s_delay_alu instid0(VALU_DEP_1) | instskip(NEXT) | instid1(VALU_DEP_1)
	v_dual_fmac_f32 v69, 0xbf4f1bbd, v53 :: v_dual_sub_f32 v8, v64, v68
	v_sub_f32_e32 v9, v62, v69
	s_and_saveexec_b32 s1, s0
	s_cbranch_execz .LBB0_17
; %bb.16:
	v_dual_add_f32 v15, v15, v25 :: v_dual_add_f32 v68, v64, v68
	v_add_f32_e32 v62, v62, v69
	s_delay_alu instid0(VALU_DEP_2) | instskip(SKIP_1) | instid1(VALU_DEP_2)
	v_add_f32_e32 v15, v15, v21
	v_add_f32_e32 v19, v19, v29
	v_dual_add_f32 v2, v2, v15 :: v_dual_add_nc_u32 v21, 0xfb0, v58
	s_delay_alu instid0(VALU_DEP_2) | instskip(NEXT) | instid1(VALU_DEP_2)
	v_add_f32_e32 v19, v19, v27
	v_add_f32_e32 v2, v23, v2
	s_delay_alu instid0(VALU_DEP_2) | instskip(NEXT) | instid1(VALU_DEP_1)
	v_add_f32_e32 v19, v19, v0
	v_add_f32_e32 v15, v17, v19
	;; [unrolled: 1-line block ×4, first 2 shown]
	v_add_nc_u32_e32 v19, 0xfa0, v58
	s_delay_alu instid0(VALU_DEP_4)
	v_add_f32_e32 v64, v15, v2
	v_sub_f32_e32 v63, v15, v2
	ds_store_2addr_b64 v21, v[62:63], v[10:11] offset1:1
	ds_store_2addr_b64 v19, v[64:65], v[67:68] offset1:1
	ds_store_b64 v58, v[8:9] offset:4032
.LBB0_17:
	s_wait_alu 0xfffe
	s_or_b32 exec_lo, exec_lo, s1
	v_dual_add_f32 v2, v46, v34 :: v_dual_add_f32 v15, v12, v44
	v_sub_f32_e32 v19, v43, v41
	v_dual_sub_f32 v21, v45, v33 :: v_dual_add_f32 v14, v14, v40
	s_delay_alu instid0(VALU_DEP_3)
	v_fma_f32 v45, -0.5, v2, v12
	v_sub_f32_e32 v2, v42, v34
	v_add_f32_e32 v25, v44, v42
	v_sub_f32_e32 v23, v44, v46
	v_sub_f32_e32 v17, v29, v17
	v_dual_fmamk_f32 v41, v19, 0x3f737871, v45 :: v_dual_add_f32 v14, v14, v38
	v_add_f32_e32 v15, v15, v46
	v_dual_fmac_f32 v45, 0xbf737871, v19 :: v_dual_fmac_f32 v12, -0.5, v25
	v_dual_sub_f32 v33, v46, v44 :: v_dual_add_f32 v2, v23, v2
	s_delay_alu instid0(VALU_DEP_4)
	v_dual_add_f32 v14, v14, v36 :: v_dual_fmac_f32 v41, 0x3f167918, v21
	global_wb scope:SCOPE_SE
	s_wait_dscnt 0x0
	s_wait_kmcnt 0x0
	s_barrier_signal -1
	s_barrier_wait -1
	v_add_f32_e32 v14, v14, v32
	v_add_f32_e32 v32, v28, v1
	v_fmac_f32_e32 v45, 0xbf167918, v21
	v_fmac_f32_e32 v41, 0x3e9e377a, v2
	global_inv scope:SCOPE_SE
	v_mul_f32_e32 v62, 0x3f167918, v37
	v_dual_mul_f32 v60, 0x3e9e377a, v60 :: v_dual_fmac_f32 v45, 0x3e9e377a, v2
	v_dual_mul_f32 v2, 0x3e9e377a, v35 :: v_dual_sub_f32 v25, v34, v42
	s_delay_alu instid0(VALU_DEP_3) | instskip(NEXT) | instid1(VALU_DEP_3)
	v_fmac_f32_e32 v62, 0x3f4f1bbd, v57
	v_fmac_f32_e32 v60, 0x3f737871, v55
	s_delay_alu instid0(VALU_DEP_3)
	v_fma_f32 v13, 0x3f737871, v13, -v2
	v_fmamk_f32 v23, v21, 0xbf737871, v12
	v_dual_fmac_f32 v12, 0x3f737871, v21 :: v_dual_add_f32 v15, v15, v34
	v_add_f32_e32 v21, v33, v25
	v_mul_f32_e32 v25, 0x3f4f1bbd, v51
	v_fma_f32 v2, -0.5, v32, v20
	s_delay_alu instid0(VALU_DEP_4) | instskip(NEXT) | instid1(VALU_DEP_3)
	v_dual_fmac_f32 v12, 0xbf167918, v19 :: v_dual_add_f32 v15, v15, v42
	v_fma_f32 v72, 0x3f167918, v49, -v25
	s_delay_alu instid0(VALU_DEP_3) | instskip(NEXT) | instid1(VALU_DEP_3)
	v_fmamk_f32 v51, v17, 0x3f737871, v2
	v_dual_fmac_f32 v12, 0x3e9e377a, v21 :: v_dual_add_f32 v63, v15, v14
	v_fmac_f32_e32 v2, 0xbf737871, v17
	v_sub_f32_e32 v68, v15, v14
	v_add_f32_e32 v14, v30, v18
	s_delay_alu instid0(VALU_DEP_4) | instskip(SKIP_4) | instid1(VALU_DEP_4)
	v_dual_add_f32 v66, v12, v13 :: v_dual_fmac_f32 v23, 0x3f167918, v19
	v_sub_f32_e32 v15, v27, v0
	v_sub_f32_e32 v25, v30, v28
	;; [unrolled: 1-line block ×3, first 2 shown]
	v_fma_f32 v0, -0.5, v14, v20
	v_fmac_f32_e32 v2, 0xbf167918, v15
	s_delay_alu instid0(VALU_DEP_3) | instskip(SKIP_1) | instid1(VALU_DEP_4)
	v_dual_add_f32 v14, v25, v27 :: v_dual_fmac_f32 v23, 0x3e9e377a, v21
	v_mul_f32_e32 v21, 0x3f737871, v52
	v_fmamk_f32 v52, v15, 0xbf737871, v0
	v_fmac_f32_e32 v0, 0x3f737871, v15
	s_delay_alu instid0(VALU_DEP_4) | instskip(NEXT) | instid1(VALU_DEP_4)
	v_dual_fmac_f32 v2, 0x3e9e377a, v14 :: v_dual_add_f32 v67, v45, v72
	v_fmac_f32_e32 v21, 0x3e9e377a, v31
	v_mul_f32_e32 v19, 0x3f4f1bbd, v39
	v_dual_fmac_f32 v51, 0x3f167918, v15 :: v_dual_sub_f32 v72, v45, v72
	v_fmac_f32_e32 v52, 0x3f167918, v17
	s_delay_alu instid0(VALU_DEP_3) | instskip(SKIP_2) | instid1(VALU_DEP_3)
	v_dual_sub_f32 v70, v23, v21 :: v_dual_fmac_f32 v19, 0x3f167918, v50
	v_add_f32_e32 v65, v23, v21
	v_dual_sub_f32 v21, v1, v18 :: v_dual_fmac_f32 v0, 0xbf167918, v17
	v_dual_fmac_f32 v51, 0x3e9e377a, v14 :: v_dual_add_f32 v64, v41, v19
	v_sub_f32_e32 v69, v41, v19
	v_sub_f32_e32 v19, v28, v30
	;; [unrolled: 1-line block ×3, first 2 shown]
	v_mul_i32_i24_e32 v13, 0xffffffdc, v47
	v_lshlrev_b32_e32 v14, 2, v47
	s_delay_alu instid0(VALU_DEP_4) | instskip(NEXT) | instid1(VALU_DEP_1)
	v_dual_add_f32 v12, v19, v21 :: v_dual_add_nc_u32 v45, 0x64, v47
	v_fmac_f32_e32 v0, 0x3e9e377a, v12
	v_lshlrev_b32_e32 v25, 2, v48
	v_fmac_f32_e32 v52, 0x3e9e377a, v12
	s_delay_alu instid0(VALU_DEP_2) | instskip(SKIP_1) | instid1(VALU_DEP_3)
	v_add3_u32 v46, v61, v13, v25
	v_mul_f32_e32 v13, 0x3e9e377a, v59
	v_sub_f32_e32 v15, v52, v60
	s_delay_alu instid0(VALU_DEP_3) | instskip(NEXT) | instid1(VALU_DEP_3)
	v_add_nc_u32_e32 v27, 0x600, v46
	v_fma_f32 v54, 0x3f737871, v54, -v13
	v_add_nc_u32_e32 v19, 0x400, v46
	v_add_nc_u32_e32 v29, 0xa00, v46
	;; [unrolled: 1-line block ×4, first 2 shown]
	v_sub_f32_e32 v12, v0, v54
	v_add_nc_u32_e32 v50, 0x1400, v46
	v_add3_u32 v48, 0, v25, v14
	ds_load_2addr_b32 v[43:44], v46 offset0:100 offset1:200
	ds_load_2addr_b32 v[37:38], v19 offset0:44 offset1:144
	;; [unrolled: 1-line block ×7, first 2 shown]
	ds_load_b32 v17, v48
	ds_load_b32 v23, v46 offset:6000
	v_mul_f32_e32 v14, 0x3f4f1bbd, v56
	global_wb scope:SCOPE_SE
	s_wait_dscnt 0x0
	s_barrier_signal -1
	s_barrier_wait -1
	global_inv scope:SCOPE_SE
	v_fma_f32 v53, 0x3f167918, v53, -v14
	v_sub_f32_e32 v14, v51, v62
	ds_store_2addr_b64 v58, v[63:64], v[65:66] offset1:1
	ds_store_2addr_b64 v58, v[67:68], v[69:70] offset0:2 offset1:3
	ds_store_b64 v58, v[71:72] offset:32
	v_sub_f32_e32 v13, v2, v53
	s_and_saveexec_b32 s1, s0
	s_cbranch_execz .LBB0_19
; %bb.18:
	v_add_f32_e32 v16, v16, v26
	v_add_f32_e32 v2, v2, v53
	s_delay_alu instid0(VALU_DEP_2) | instskip(SKIP_2) | instid1(VALU_DEP_3)
	v_add_f32_e32 v16, v16, v22
	v_add_f32_e32 v20, v20, v30
	v_mul_u32_u24_e32 v22, 10, v45
	v_add_f32_e32 v3, v3, v16
	s_delay_alu instid0(VALU_DEP_3) | instskip(NEXT) | instid1(VALU_DEP_2)
	v_add_f32_e32 v20, v20, v28
	v_dual_add_f32 v3, v24, v3 :: v_dual_lshlrev_b32 v16, 2, v22
	s_delay_alu instid0(VALU_DEP_2) | instskip(SKIP_2) | instid1(VALU_DEP_4)
	v_dual_add_f32 v20, v20, v1 :: v_dual_add_f32 v1, v51, v62
	v_add_f32_e32 v51, v52, v60
	v_add_f32_e32 v52, v0, v54
	v_add3_u32 v16, 0, v16, v25
	s_delay_alu instid0(VALU_DEP_4) | instskip(NEXT) | instid1(VALU_DEP_1)
	v_add_f32_e32 v18, v18, v20
	v_add_f32_e32 v0, v18, v3
	v_sub_f32_e32 v3, v18, v3
	ds_store_2addr_b64 v16, v[0:1], v[51:52] offset1:1
	ds_store_2addr_b64 v16, v[2:3], v[14:15] offset0:2 offset1:3
	ds_store_b64 v16, v[12:13] offset:32
.LBB0_19:
	s_wait_alu 0xfffe
	s_or_b32 exec_lo, exec_lo, s1
	v_and_b32_e32 v0, 0xff, v47
	global_wb scope:SCOPE_SE
	s_wait_dscnt 0x0
	s_barrier_signal -1
	s_barrier_wait -1
	global_inv scope:SCOPE_SE
	v_mul_lo_u16 v0, 0xcd, v0
	s_delay_alu instid0(VALU_DEP_1) | instskip(NEXT) | instid1(VALU_DEP_1)
	v_lshrrev_b16 v16, 11, v0
	v_mul_lo_u16 v0, v16, 10
	s_delay_alu instid0(VALU_DEP_1) | instskip(NEXT) | instid1(VALU_DEP_1)
	v_sub_nc_u16 v0, v47, v0
	v_and_b32_e32 v18, 0xff, v0
	s_delay_alu instid0(VALU_DEP_1) | instskip(NEXT) | instid1(VALU_DEP_1)
	v_mul_u32_u24_e32 v0, 15, v18
	v_lshlrev_b32_e32 v20, 3, v0
	s_clause 0x7
	global_load_b128 v[53:56], v20, s[4:5]
	global_load_b128 v[57:60], v20, s[4:5] offset:16
	global_load_b128 v[61:64], v20, s[4:5] offset:32
	;; [unrolled: 1-line block ×6, first 2 shown]
	global_load_b64 v[77:78], v20, s[4:5] offset:112
	ds_load_2addr_b32 v[79:80], v46 offset0:100 offset1:200
	ds_load_2addr_b32 v[81:82], v19 offset0:44 offset1:144
	;; [unrolled: 1-line block ×7, first 2 shown]
	v_and_b32_e32 v16, 0xffff, v16
	v_add_nc_u32_e32 v49, 0x200, v46
	s_wait_loadcnt 0x7
	v_dual_mul_f32 v30, v44, v56 :: v_dual_add_nc_u32 v51, 0x1100, v46
	v_mul_f32_e32 v24, v43, v54
	s_wait_loadcnt_dscnt 0x504
	v_mul_f32_e32 v87, v26, v62
	s_wait_loadcnt_dscnt 0x403
	v_mul_f32_e32 v89, v19, v1
	v_mul_f32_e32 v1, v31, v1
	v_mul_u32_u24_e32 v16, 0xa0, v16
	v_fma_f32 v30, v80, v55, -v30
	v_mul_f32_e32 v88, v27, v64
	v_dual_mul_f32 v64, v42, v64 :: v_dual_fmac_f32 v87, v41, v61
	s_delay_alu instid0(VALU_DEP_4)
	v_or_b32_e32 v16, v16, v18
	s_wait_loadcnt_dscnt 0x302
	v_mul_f32_e32 v92, v29, v68
	v_mul_f32_e32 v68, v40, v68
	;; [unrolled: 1-line block ×3, first 2 shown]
	ds_load_b32 v22, v48
	ds_load_b32 v18, v46 offset:6000
	v_lshlrev_b32_e32 v16, 2, v16
	v_fma_f32 v27, v27, v63, -v64
	s_wait_loadcnt_dscnt 0x203
	v_dual_mul_f32 v94, v84, v72 :: v_dual_mul_f32 v93, v83, v70
	v_mul_f32_e32 v62, v41, v62
	v_add3_u32 v52, 0, v16, v25
	v_dual_mul_f32 v25, v80, v56 :: v_dual_add_nc_u32 v50, 0x700, v46
	v_mul_f32_e32 v16, v79, v54
	v_dual_mul_f32 v54, v81, v58 :: v_dual_fmac_f32 v89, v31, v0
	v_dual_mul_f32 v56, v37, v58 :: v_dual_fmac_f32 v91, v39, v65
	v_mul_f32_e32 v58, v82, v60
	v_dual_mul_f32 v60, v38, v60 :: v_dual_fmac_f32 v25, v44, v55
	s_wait_loadcnt_dscnt 0x102
	v_dual_mul_f32 v55, v86, v76 :: v_dual_mul_f32 v66, v39, v66
	v_fma_f32 v24, v79, v53, -v24
	v_fma_f32 v0, v19, v0, -v1
	v_fmac_f32_e32 v93, v35, v69
	s_delay_alu instid0(VALU_DEP_4)
	v_fmac_f32_e32 v55, v34, v75
	v_fma_f32 v26, v26, v61, -v62
	v_dual_fmac_f32 v16, v43, v53 :: v_dual_mul_f32 v53, v33, v74
	v_fma_f32 v1, v28, v65, -v66
	v_dual_mul_f32 v44, v85, v74 :: v_dual_mul_f32 v43, v36, v72
	v_fma_f32 v19, v29, v67, -v68
	s_delay_alu instid0(VALU_DEP_4) | instskip(NEXT) | instid1(VALU_DEP_4)
	v_fma_f32 v31, v85, v73, -v53
	v_sub_f32_e32 v1, v24, v1
	s_delay_alu instid0(VALU_DEP_4) | instskip(SKIP_3) | instid1(VALU_DEP_4)
	v_fmac_f32_e32 v44, v33, v73
	v_fmac_f32_e32 v58, v38, v59
	;; [unrolled: 1-line block ×3, first 2 shown]
	v_dual_sub_f32 v31, v26, v31 :: v_dual_mul_f32 v70, v35, v70
	v_dual_sub_f32 v35, v16, v91 :: v_dual_sub_f32 v38, v87, v44
	v_fma_f32 v29, v84, v71, -v43
	v_sub_f32_e32 v19, v30, v19
	v_fmac_f32_e32 v92, v40, v67
	s_delay_alu instid0(VALU_DEP_4)
	v_fma_f32 v16, v16, 2.0, -v35
	v_fma_f32 v24, v24, 2.0, -v1
	;; [unrolled: 1-line block ×3, first 2 shown]
	v_fmac_f32_e32 v54, v37, v57
	v_fma_f32 v37, v82, v59, -v60
	v_fma_f32 v26, v26, 2.0, -v31
	v_mul_f32_e32 v90, v20, v3
	v_fma_f32 v53, v30, 2.0, -v19
	s_wait_loadcnt_dscnt 0x0
	v_dual_mul_f32 v74, v18, v78 :: v_dual_add_f32 v31, v35, v31
	v_sub_f32_e32 v42, v37, v29
	v_sub_f32_e32 v29, v25, v92
	v_mul_f32_e32 v72, v34, v76
	v_sub_f32_e32 v26, v24, v26
	v_sub_f32_e32 v34, v88, v55
	v_fma_f32 v56, v81, v57, -v56
	v_fma_f32 v28, v83, v69, -v70
	;; [unrolled: 1-line block ×3, first 2 shown]
	v_sub_f32_e32 v61, v1, v38
	v_sub_f32_e32 v60, v19, v34
	v_fma_f32 v25, v25, 2.0, -v29
	s_delay_alu instid0(VALU_DEP_4) | instskip(SKIP_1) | instid1(VALU_DEP_4)
	v_dual_sub_f32 v28, v56, v28 :: v_dual_sub_f32 v33, v27, v33
	v_fma_f32 v57, v24, 2.0, -v26
	v_fma_f32 v64, v19, 2.0, -v60
	v_dual_sub_f32 v19, v16, v43 :: v_dual_mul_f32 v76, v23, v78
	v_sub_f32_e32 v39, v54, v93
	v_fma_f32 v27, v27, 2.0, -v33
	v_add_f32_e32 v59, v29, v33
	v_fma_f32 v1, v1, 2.0, -v61
	v_fma_f32 v18, v18, v77, -v76
	v_fma_f32 v44, v54, 2.0, -v39
	v_fmac_f32_e32 v74, v23, v77
	v_fma_f32 v54, v56, 2.0, -v28
	v_sub_f32_e32 v56, v53, v27
	v_sub_f32_e32 v18, v0, v18
	v_fmac_f32_e32 v94, v36, v71
	v_sub_f32_e32 v40, v89, v74
	v_fma_f32 v63, v29, 2.0, -v59
	v_fma_f32 v27, v35, 2.0, -v31
	;; [unrolled: 1-line block ×3, first 2 shown]
	v_add_f32_e32 v18, v39, v18
	v_fmac_f32_e32 v90, v32, v2
	v_sub_f32_e32 v36, v58, v94
	v_fma_f32 v55, v89, 2.0, -v40
	v_sub_f32_e32 v0, v54, v0
	v_fmamk_f32 v33, v18, 0x3f3504f3, v31
	v_sub_f32_e32 v23, v17, v90
	v_fma_f32 v41, v58, 2.0, -v36
	v_sub_f32_e32 v29, v44, v55
	v_fma_f32 v24, v54, 2.0, -v0
	global_wb scope:SCOPE_SE
	v_fma_f32 v17, v17, 2.0, -v23
	v_dual_add_f32 v58, v23, v42 :: v_dual_sub_f32 v69, v26, v29
	s_barrier_signal -1
	s_barrier_wait -1
	s_delay_alu instid0(VALU_DEP_2)
	v_sub_f32_e32 v41, v17, v41
	v_fma_f32 v30, v88, 2.0, -v34
	v_fma_f32 v62, v23, 2.0, -v58
	;; [unrolled: 1-line block ×3, first 2 shown]
	v_fmamk_f32 v65, v59, 0x3f3504f3, v58
	v_add_f32_e32 v67, v41, v56
	s_delay_alu instid0(VALU_DEP_4)
	v_dual_sub_f32 v23, v25, v30 :: v_dual_fmamk_f32 v66, v63, 0xbf3504f3, v62
	v_fma_f32 v30, v39, 2.0, -v18
	v_fma_f32 v39, v17, 2.0, -v41
	global_inv scope:SCOPE_SE
	v_fma_f32 v17, v25, 2.0, -v23
	v_fmac_f32_e32 v66, 0x3f3504f3, v64
	v_fma_f32 v25, v16, 2.0, -v19
	v_fma_f32 v16, v44, 2.0, -v29
	s_delay_alu instid0(VALU_DEP_4) | instskip(NEXT) | instid1(VALU_DEP_4)
	v_dual_fmamk_f32 v34, v30, 0xbf3504f3, v27 :: v_dual_sub_f32 v29, v39, v17
	v_fma_f32 v26, v62, 2.0, -v66
	v_sub_f32_e32 v40, v28, v40
	s_delay_alu instid0(VALU_DEP_4) | instskip(SKIP_2) | instid1(VALU_DEP_4)
	v_sub_f32_e32 v44, v25, v16
	v_mul_f32_e32 v64, 0x3f3504f3, v64
	v_mul_f32_e32 v62, 0x3f3504f3, v69
	v_fma_f32 v28, v28, 2.0, -v40
	v_fmamk_f32 v35, v40, 0x3f3504f3, v61
	v_fmac_f32_e32 v33, 0x3f3504f3, v40
	v_fma_f32 v40, v41, 2.0, -v67
	v_fma_f32 v25, v25, 2.0, -v44
	v_fmamk_f32 v38, v28, 0xbf3504f3, v1
	v_fmac_f32_e32 v35, 0xbf3504f3, v18
	v_fmac_f32_e32 v34, 0x3f3504f3, v28
	v_fma_f32 v43, v31, 2.0, -v33
	s_delay_alu instid0(VALU_DEP_4) | instskip(SKIP_3) | instid1(VALU_DEP_4)
	v_fmac_f32_e32 v38, 0xbf3504f3, v30
	v_add_f32_e32 v68, v19, v0
	v_fma_f32 v54, v61, 2.0, -v35
	v_mul_f32_e32 v61, 0x3f3504f3, v71
	v_fma_f32 v55, v1, 2.0, -v38
	s_delay_alu instid0(VALU_DEP_4) | instskip(SKIP_2) | instid1(VALU_DEP_3)
	v_fma_f32 v70, v19, 2.0, -v68
	v_fmamk_f32 v19, v34, 0x3ec3ef15, v66
	v_fmac_f32_e32 v65, 0x3f3504f3, v60
	v_fmamk_f32 v0, v70, 0xbf3504f3, v40
	s_delay_alu instid0(VALU_DEP_3) | instskip(NEXT) | instid1(VALU_DEP_3)
	v_fmac_f32_e32 v19, 0x3f6c835e, v38
	v_fmamk_f32 v17, v33, 0x3f6c835e, v65
	v_fma_f32 v41, v58, 2.0, -v65
	v_sub_f32_e32 v58, v57, v24
	v_fma_f32 v24, v39, 2.0, -v29
	v_fma_f32 v39, v27, 2.0, -v34
	v_fmamk_f32 v16, v68, 0x3f3504f3, v67
	v_fmac_f32_e32 v17, 0x3ec3ef15, v35
	v_dual_fmamk_f32 v1, v43, 0xbec3ef15, v41 :: v_dual_add_f32 v18, v29, v58
	s_delay_alu instid0(VALU_DEP_4) | instskip(SKIP_1) | instid1(VALU_DEP_4)
	v_fmamk_f32 v27, v39, 0xbf6c835e, v26
	v_fmac_f32_e32 v0, 0x3f3504f3, v71
	v_fma_f32 v30, v65, 2.0, -v17
	v_dual_mul_f32 v65, 0x3f3504f3, v60 :: v_dual_fmac_f32 v16, 0x3f3504f3, v69
	v_fmac_f32_e32 v1, 0x3f6c835e, v54
	v_sub_f32_e32 v25, v24, v25
	v_fmac_f32_e32 v27, 0x3ec3ef15, v55
	v_fma_f32 v28, v29, 2.0, -v18
	v_fma_f32 v29, v67, 2.0, -v16
	;; [unrolled: 1-line block ×7, first 2 shown]
	ds_store_2addr_b32 v52, v16, v17 offset0:140 offset1:150
	ds_store_2addr_b32 v52, v29, v30 offset0:60 offset1:70
	;; [unrolled: 1-line block ×7, first 2 shown]
	ds_store_2addr_b32 v52, v24, v26 offset1:10
	global_wb scope:SCOPE_SE
	s_wait_dscnt 0x0
	s_barrier_signal -1
	s_barrier_wait -1
	global_inv scope:SCOPE_SE
	ds_load_2addr_b32 v[28:29], v49 offset0:32 offset1:192
	ds_load_2addr_b32 v[24:25], v50 offset0:32 offset1:192
	;; [unrolled: 1-line block ×4, first 2 shown]
	ds_load_b32 v40, v48
	ds_load_b32 v41, v46 offset:5760
	v_mul_f32_e32 v21, 0x3f3504f3, v63
	v_mul_f32_e32 v63, 0x3f3504f3, v59
	v_dual_mul_f32 v59, 0x3f3504f3, v70 :: v_dual_mul_f32 v60, 0x3f3504f3, v68
	s_and_saveexec_b32 s1, s0
	s_cbranch_execz .LBB0_21
; %bb.20:
	v_add_nc_u32_e32 v0, 0x100, v46
	v_add_nc_u32_e32 v8, 0x600, v46
	;; [unrolled: 1-line block ×5, first 2 shown]
	ds_load_2addr_b32 v[0:1], v0 offset0:36 offset1:196
	ds_load_2addr_b32 v[18:19], v8 offset0:36 offset1:196
	;; [unrolled: 1-line block ×5, first 2 shown]
.LBB0_21:
	s_wait_alu 0xfffe
	s_or_b32 exec_lo, exec_lo, s1
	v_mul_f32_e32 v3, v32, v3
	v_fma_f32 v32, v53, 2.0, -v56
	global_wb scope:SCOPE_SE
	s_wait_dscnt 0x0
	s_barrier_signal -1
	s_barrier_wait -1
	v_fma_f32 v2, v20, v2, -v3
	v_fma_f32 v3, v37, 2.0, -v42
	global_inv scope:SCOPE_SE
	v_sub_f32_e32 v2, v22, v2
	s_delay_alu instid0(VALU_DEP_1) | instskip(SKIP_2) | instid1(VALU_DEP_3)
	v_fma_f32 v20, v22, 2.0, -v2
	v_sub_f32_e32 v22, v2, v36
	v_fma_f32 v36, v57, 2.0, -v58
	v_sub_f32_e32 v3, v20, v3
	s_delay_alu instid0(VALU_DEP_3) | instskip(NEXT) | instid1(VALU_DEP_2)
	v_fma_f32 v2, v2, 2.0, -v22
	v_fma_f32 v20, v20, 2.0, -v3
	v_add_f32_e32 v37, v22, v65
	s_delay_alu instid0(VALU_DEP_3) | instskip(NEXT) | instid1(VALU_DEP_2)
	v_dual_sub_f32 v42, v2, v64 :: v_dual_sub_f32 v53, v3, v23
	v_dual_sub_f32 v32, v20, v32 :: v_dual_sub_f32 v37, v37, v63
	s_delay_alu instid0(VALU_DEP_2) | instskip(NEXT) | instid1(VALU_DEP_3)
	v_sub_f32_e32 v42, v42, v21
	v_fma_f32 v56, v3, 2.0, -v53
	s_delay_alu instid0(VALU_DEP_3)
	v_dual_add_f32 v58, v53, v62 :: v_dual_fmamk_f32 v21, v35, 0x3f6c835e, v37
	v_fma_f32 v57, v22, 2.0, -v37
	v_fma_f32 v35, v20, 2.0, -v32
	;; [unrolled: 1-line block ×3, first 2 shown]
	v_sub_f32_e32 v2, v56, v61
	v_dual_sub_f32 v22, v32, v44 :: v_dual_fmamk_f32 v23, v38, 0x3ec3ef15, v42
	v_fmamk_f32 v3, v54, 0xbec3ef15, v57
	v_dual_sub_f32 v20, v58, v60 :: v_dual_fmac_f32 v21, 0xbec3ef15, v33
	s_delay_alu instid0(VALU_DEP_4) | instskip(NEXT) | instid1(VALU_DEP_3)
	v_dual_sub_f32 v33, v35, v36 :: v_dual_sub_f32 v2, v2, v59
	v_dual_fmamk_f32 v36, v55, 0xbf6c835e, v62 :: v_dual_fmac_f32 v3, 0xbf6c835e, v43
	v_fmac_f32_e32 v23, 0xbf6c835e, v34
	s_delay_alu instid0(VALU_DEP_4) | instskip(SKIP_1) | instid1(VALU_DEP_4)
	v_fma_f32 v34, v53, 2.0, -v20
	v_fma_f32 v37, v37, 2.0, -v21
	v_fmac_f32_e32 v36, 0xbec3ef15, v39
	v_fma_f32 v38, v56, 2.0, -v2
	v_fma_f32 v39, v57, 2.0, -v3
	;; [unrolled: 1-line block ×4, first 2 shown]
	ds_store_2addr_b32 v52, v20, v21 offset0:140 offset1:150
	v_fma_f32 v35, v35, 2.0, -v33
	ds_store_2addr_b32 v52, v34, v37 offset0:60 offset1:70
	ds_store_2addr_b32 v52, v2, v3 offset0:100 offset1:110
	v_fma_f32 v34, v62, 2.0, -v36
	ds_store_2addr_b32 v52, v22, v23 offset0:120 offset1:130
	ds_store_2addr_b32 v52, v38, v39 offset0:20 offset1:30
	;; [unrolled: 1-line block ×4, first 2 shown]
	ds_store_2addr_b32 v52, v35, v34 offset1:10
	v_add_nc_u32_e32 v34, 0xc00, v46
	global_wb scope:SCOPE_SE
	s_wait_dscnt 0x0
	s_barrier_signal -1
	s_barrier_wait -1
	global_inv scope:SCOPE_SE
	ds_load_2addr_b32 v[32:33], v49 offset0:32 offset1:192
	ds_load_2addr_b32 v[38:39], v50 offset0:32 offset1:192
	;; [unrolled: 1-line block ×4, first 2 shown]
	ds_load_b32 v42, v48
	ds_load_b32 v43, v46 offset:5760
	s_and_saveexec_b32 s1, s0
	s_cbranch_execz .LBB0_23
; %bb.22:
	v_add_nc_u32_e32 v2, 0x100, v46
	v_add_nc_u32_e32 v12, 0x600, v46
	v_add_nc_u32_e32 v13, 0xb00, v46
	v_add_nc_u32_e32 v14, 0x1000, v46
	v_add_nc_u32_e32 v44, 0x1500, v46
	ds_load_2addr_b32 v[2:3], v2 offset0:36 offset1:196
	ds_load_2addr_b32 v[22:23], v12 offset0:36 offset1:196
	;; [unrolled: 1-line block ×5, first 2 shown]
.LBB0_23:
	s_wait_alu 0xfffe
	s_or_b32 exec_lo, exec_lo, s1
	s_and_saveexec_b32 s1, vcc_lo
	s_cbranch_execz .LBB0_26
; %bb.24:
	v_mul_u32_u24_e32 v44, 9, v47
	v_mul_lo_u32 v46, s3, v6
	v_mul_lo_u32 v66, s2, v7
	v_mad_co_u64_u32 v[6:7], null, s2, v6, 0
	s_delay_alu instid0(VALU_DEP_4)
	v_lshlrev_b32_e32 v44, 3, v44
	s_clause 0x4
	global_load_b128 v[48:51], v44, s[4:5] offset:1200
	global_load_b128 v[52:55], v44, s[4:5] offset:1216
	;; [unrolled: 1-line block ×4, first 2 shown]
	global_load_b64 v[64:65], v44, s[4:5] offset:1264
	v_mul_hi_u32 v44, 0xcccccccd, v47
	v_add3_u32 v7, v7, v66, v46
	v_lshlrev_b64_e32 v[66:67], 3, v[4:5]
	v_add_nc_u32_e32 v4, 0x64, v47
	s_delay_alu instid0(VALU_DEP_3) | instskip(SKIP_1) | instid1(VALU_DEP_2)
	v_lshlrev_b64_e32 v[6:7], 3, v[6:7]
	v_lshrrev_b32_e32 v44, 7, v44
	v_add_co_u32 v6, vcc_lo, s10, v6
	s_delay_alu instid0(VALU_DEP_2) | instskip(SKIP_1) | instid1(VALU_DEP_4)
	v_mul_lo_u32 v44, 0xa0, v44
	s_wait_alu 0xfffd
	v_add_co_ci_u32_e32 v7, vcc_lo, s11, v7, vcc_lo
	s_delay_alu instid0(VALU_DEP_3) | instskip(SKIP_1) | instid1(VALU_DEP_2)
	v_add_co_u32 v6, vcc_lo, v6, v66
	s_wait_alu 0xfffd
	v_add_co_ci_u32_e32 v7, vcc_lo, v7, v67, vcc_lo
	s_delay_alu instid0(VALU_DEP_4) | instskip(NEXT) | instid1(VALU_DEP_1)
	v_sub_nc_u32_e32 v5, v47, v44
	v_lshlrev_b32_e32 v5, 3, v5
	s_wait_loadcnt 0x3
	v_dual_mul_f32 v73, v28, v48 :: v_dual_mul_f32 v44, v25, v55
	s_delay_alu instid0(VALU_DEP_2)
	v_add_co_u32 v66, s1, v6, v5
	v_mul_f32_e32 v5, v29, v51
	s_wait_loadcnt 0x0
	v_dual_mul_f32 v46, v31, v59 :: v_dual_mul_f32 v71, v41, v64
	v_mul_f32_e32 v68, v27, v63
	s_wait_dscnt 0x5
	v_dual_mul_f32 v51, v33, v51 :: v_dual_mul_f32 v70, v26, v60
	s_wait_dscnt 0x2
	v_dual_mul_f32 v59, v37, v59 :: v_dual_mul_f32 v72, v30, v56
	v_mul_f32_e32 v55, v39, v55
	v_dual_mul_f32 v63, v35, v63 :: v_dual_mul_f32 v26, v26, v61
	v_mul_f32_e32 v69, v24, v52
	v_mul_f32_e32 v24, v24, v53
	v_dual_mul_f32 v30, v30, v57 :: v_dual_fmac_f32 v51, v29, v50
	v_dual_mul_f32 v28, v28, v49 :: v_dual_fmac_f32 v59, v31, v58
	v_mul_f32_e32 v41, v41, v65
	v_fma_f32 v37, v37, v58, -v46
	v_fma_f32 v35, v35, v62, -v68
	;; [unrolled: 1-line block ×4, first 2 shown]
	v_dual_fmac_f32 v55, v25, v54 :: v_dual_fmac_f32 v70, v34, v61
	v_dual_fmac_f32 v63, v27, v62 :: v_dual_fmac_f32 v72, v36, v57
	v_fmac_f32_e32 v69, v38, v53
	v_fmac_f32_e32 v73, v32, v49
	v_fma_f32 v24, v38, v52, -v24
	v_fma_f32 v26, v34, v60, -v26
	v_sub_f32_e32 v34, v55, v63
	v_fma_f32 v27, v36, v56, -v30
	v_fma_f32 v28, v32, v48, -v28
	s_wait_dscnt 0x0
	v_dual_sub_f32 v30, v37, v35 :: v_dual_fmac_f32 v71, v43, v65
	v_sub_f32_e32 v36, v69, v70
	v_sub_f32_e32 v32, v51, v59
	v_fma_f32 v25, v43, v64, -v41
	s_delay_alu instid0(VALU_DEP_4) | instskip(SKIP_1) | instid1(VALU_DEP_3)
	v_dual_sub_f32 v29, v5, v33 :: v_dual_sub_f32 v38, v71, v72
	v_dual_add_f32 v31, v33, v35 :: v_dual_sub_f32 v44, v24, v26
	v_dual_add_f32 v39, v70, v72 :: v_dual_sub_f32 v46, v25, v27
	v_dual_sub_f32 v41, v24, v25 :: v_dual_add_f32 v48, v26, v27
	v_dual_sub_f32 v53, v35, v37 :: v_dual_add_f32 v58, v69, v71
	v_dual_sub_f32 v60, v26, v24 :: v_dual_sub_f32 v61, v27, v25
	v_dual_add_f32 v62, v24, v25 :: v_dual_sub_f32 v75, v33, v35
	v_dual_add_f32 v24, v24, v28 :: v_dual_sub_f32 v43, v26, v27
	v_sub_f32_e32 v52, v33, v5
	v_dual_sub_f32 v49, v69, v71 :: v_dual_sub_f32 v50, v70, v72
	v_dual_add_f32 v54, v5, v37 :: v_dual_sub_f32 v57, v72, v71
	v_dual_sub_f32 v56, v70, v69 :: v_dual_sub_f32 v65, v51, v55
	v_dual_add_f32 v64, v42, v5 :: v_dual_sub_f32 v77, v63, v59
	v_dual_sub_f32 v68, v59, v63 :: v_dual_add_f32 v69, v69, v73
	v_dual_add_f32 v74, v55, v63 :: v_dual_add_f32 v29, v29, v30
	v_dual_sub_f32 v5, v5, v37 :: v_dual_sub_f32 v76, v55, v51
	s_delay_alu instid0(VALU_DEP_4) | instskip(SKIP_4) | instid1(VALU_DEP_4)
	v_dual_add_f32 v78, v51, v59 :: v_dual_add_f32 v33, v64, v33
	v_dual_add_f32 v51, v40, v51 :: v_dual_add_f32 v24, v26, v24
	v_fma_f32 v79, -0.5, v31, v42
	v_add_f32_e32 v30, v36, v38
	v_fma_f32 v31, -0.5, v39, v73
	v_add_f32_e32 v51, v51, v55
	;; [unrolled: 2-line block ×3, first 2 shown]
	v_fma_f32 v46, -0.5, v58, v73
	v_fma_f32 v42, -0.5, v54, v42
	v_add_f32_e32 v48, v60, v61
	v_fma_f32 v28, -0.5, v62, v28
	v_add_f32_e32 v44, v56, v57
	v_dual_add_f32 v54, v70, v69 :: v_dual_fmamk_f32 v55, v32, 0xbf737871, v79
	v_fmamk_f32 v56, v41, 0x3f737871, v31
	v_fmamk_f32 v57, v49, 0xbf737871, v38
	v_dual_fmamk_f32 v60, v43, 0xbf737871, v46 :: v_dual_fmac_f32 v31, 0xbf737871, v41
	v_dual_fmac_f32 v46, 0x3f737871, v43 :: v_dual_add_f32 v39, v52, v53
	v_fma_f32 v52, -0.5, v74, v40
	v_fma_f32 v40, -0.5, v78, v40
	v_dual_fmamk_f32 v58, v34, 0x3f737871, v42 :: v_dual_add_f32 v33, v33, v35
	v_fmac_f32_e32 v79, 0x3f737871, v32
	v_dual_add_f32 v24, v27, v24 :: v_dual_fmac_f32 v55, 0xbf167918, v34
	v_fmac_f32_e32 v42, 0xbf737871, v34
	v_add_f32_e32 v35, v72, v54
	v_dual_fmac_f32 v57, 0xbf167918, v50 :: v_dual_fmac_f32 v58, 0xbf167918, v32
	v_dual_fmac_f32 v46, 0xbf167918, v41 :: v_dual_fmac_f32 v31, 0xbf167918, v43
	v_fmamk_f32 v61, v50, 0x3f737871, v28
	v_dual_add_f32 v27, v51, v63 :: v_dual_fmac_f32 v28, 0xbf737871, v50
	v_dual_fmac_f32 v56, 0x3f167918, v43 :: v_dual_fmac_f32 v79, 0x3f167918, v34
	v_dual_add_f32 v34, v71, v35 :: v_dual_fmac_f32 v55, 0x3e9e377a, v29
	v_fmac_f32_e32 v57, 0x3e9e377a, v36
	v_dual_fmac_f32 v46, 0x3e9e377a, v44 :: v_dual_fmac_f32 v31, 0x3e9e377a, v30
	v_fmac_f32_e32 v42, 0x3f167918, v32
	v_add_f32_e32 v32, v37, v33
	v_dual_add_f32 v33, v25, v24 :: v_dual_fmamk_f32 v64, v75, 0xbf737871, v40
	v_fmac_f32_e32 v40, 0x3f737871, v75
	v_fmamk_f32 v62, v5, 0x3f737871, v52
	v_fmac_f32_e32 v52, 0xbf737871, v5
	v_dual_fmac_f32 v58, 0x3e9e377a, v39 :: v_dual_fmac_f32 v79, 0x3e9e377a, v29
	v_fmac_f32_e32 v64, 0x3f167918, v5
	v_dual_fmac_f32 v40, 0xbf167918, v5 :: v_dual_add_f32 v5, v59, v27
	v_fmac_f32_e32 v28, 0x3f167918, v49
	v_dual_add_f32 v26, v65, v68 :: v_dual_add_f32 v53, v76, v77
	v_dual_sub_f32 v25, v32, v33 :: v_dual_fmac_f32 v62, 0x3f167918, v75
	s_delay_alu instid0(VALU_DEP_3) | instskip(SKIP_3) | instid1(VALU_DEP_4)
	v_fmac_f32_e32 v28, 0x3e9e377a, v48
	v_fmac_f32_e32 v61, 0xbf167918, v49
	;; [unrolled: 1-line block ×4, first 2 shown]
	v_dual_fmac_f32 v62, 0x3e9e377a, v26 :: v_dual_mul_f32 v41, 0x3e9e377a, v28
	v_fmac_f32_e32 v38, 0x3f737871, v49
	v_dual_add_f32 v27, v32, v33 :: v_dual_sub_f32 v24, v5, v34
	v_cmp_gt_u32_e32 vcc_lo, 0xa0, v4
	s_delay_alu instid0(VALU_DEP_4) | instskip(NEXT) | instid1(VALU_DEP_4)
	v_fmac_f32_e32 v41, 0x3f737871, v46
	v_fmac_f32_e32 v38, 0x3f167918, v50
	s_wait_alu 0xf1fe
	v_add_co_ci_u32_e64 v67, s1, 0, v7, s1
	s_delay_alu instid0(VALU_DEP_2) | instskip(NEXT) | instid1(VALU_DEP_1)
	v_fmac_f32_e32 v38, 0x3e9e377a, v36
	v_mul_f32_e32 v43, 0x3f4f1bbd, v38
	s_delay_alu instid0(VALU_DEP_1) | instskip(SKIP_1) | instid1(VALU_DEP_2)
	v_fmac_f32_e32 v43, 0x3f167918, v31
	v_fmac_f32_e32 v42, 0x3e9e377a, v39
	v_sub_f32_e32 v35, v79, v43
	s_delay_alu instid0(VALU_DEP_2)
	v_sub_f32_e32 v33, v42, v41
	v_add_f32_e32 v41, v42, v41
	v_mul_f32_e32 v49, 0xbf737871, v28
	v_fmac_f32_e32 v52, 0xbf167918, v75
	v_fmac_f32_e32 v61, 0x3e9e377a, v48
	v_dual_add_f32 v43, v79, v43 :: v_dual_mul_f32 v38, 0xbf167918, v38
	s_delay_alu instid0(VALU_DEP_4) | instskip(NEXT) | instid1(VALU_DEP_4)
	v_fmac_f32_e32 v49, 0x3e9e377a, v46
	v_fmac_f32_e32 v52, 0x3e9e377a, v26
	v_dual_add_f32 v26, v5, v34 :: v_dual_mul_f32 v5, 0xbf4f1bbd, v57
	s_delay_alu instid0(VALU_DEP_4)
	v_fmac_f32_e32 v38, 0x3f4f1bbd, v31
	v_mul_f32_e32 v36, 0xbe9e377a, v61
	v_mul_f32_e32 v48, 0xbf737871, v61
	v_fmac_f32_e32 v64, 0x3e9e377a, v53
	v_fmac_f32_e32 v5, 0x3f167918, v56
	;; [unrolled: 1-line block ×3, first 2 shown]
	v_mul_f32_e32 v44, 0xbf167918, v57
	v_add_f32_e32 v42, v52, v38
	s_delay_alu instid0(VALU_DEP_4) | instskip(NEXT) | instid1(VALU_DEP_4)
	v_dual_sub_f32 v34, v52, v38 :: v_dual_add_f32 v37, v55, v5
	v_fmac_f32_e32 v36, 0x3f737871, v60
	v_fmac_f32_e32 v48, 0xbe9e377a, v60
	v_dual_fmac_f32 v44, 0xbf4f1bbd, v56 :: v_dual_sub_f32 v29, v55, v5
	s_delay_alu instid0(VALU_DEP_3) | instskip(NEXT) | instid1(VALU_DEP_3)
	v_dual_add_f32 v39, v58, v36 :: v_dual_fmac_f32 v40, 0x3e9e377a, v53
	v_add_f32_e32 v38, v64, v48
	v_sub_f32_e32 v31, v58, v36
	s_delay_alu instid0(VALU_DEP_4)
	v_add_f32_e32 v36, v62, v44
	v_sub_f32_e32 v28, v62, v44
	v_sub_f32_e32 v32, v40, v49
	v_add_f32_e32 v40, v40, v49
	v_sub_f32_e32 v30, v64, v48
	s_clause 0x9
	global_store_b64 v[66:67], v[26:27], off
	global_store_b64 v[66:67], v[42:43], off offset:1280
	global_store_b64 v[66:67], v[40:41], off offset:2560
	;; [unrolled: 1-line block ×9, first 2 shown]
	s_and_b32 exec_lo, exec_lo, vcc_lo
	s_cbranch_execz .LBB0_26
; %bb.25:
	v_subrev_nc_u32_e32 v5, 60, v47
	v_mov_b32_e32 v41, 0
	s_delay_alu instid0(VALU_DEP_2) | instskip(NEXT) | instid1(VALU_DEP_1)
	v_cndmask_b32_e64 v5, v5, v45, s0
	v_mul_i32_i24_e32 v40, 9, v5
	s_delay_alu instid0(VALU_DEP_1) | instskip(SKIP_1) | instid1(VALU_DEP_1)
	v_lshlrev_b64_e32 v[24:25], 3, v[40:41]
	v_dual_mov_b32 v5, v41 :: v_dual_add_nc_u32 v40, 0x104, v47
	v_lshlrev_b64_e32 v[44:45], 3, v[40:41]
	v_add_nc_u32_e32 v40, 0x1a4, v47
	s_delay_alu instid0(VALU_DEP_4) | instskip(SKIP_2) | instid1(VALU_DEP_3)
	v_add_co_u32 v42, vcc_lo, s4, v24
	s_wait_alu 0xfffd
	v_add_co_ci_u32_e32 v43, vcc_lo, s5, v25, vcc_lo
	v_lshlrev_b64_e32 v[48:49], 3, v[40:41]
	s_clause 0x4
	global_load_b128 v[24:27], v[42:43], off offset:1200
	global_load_b128 v[28:31], v[42:43], off offset:1216
	global_load_b128 v[32:35], v[42:43], off offset:1232
	global_load_b128 v[36:39], v[42:43], off offset:1248
	global_load_b64 v[42:43], v[42:43], off offset:1264
	v_add_nc_u32_e32 v40, 0x244, v47
	v_lshlrev_b64_e32 v[4:5], 3, v[4:5]
	s_delay_alu instid0(VALU_DEP_2) | instskip(SKIP_1) | instid1(VALU_DEP_3)
	v_lshlrev_b64_e32 v[50:51], 3, v[40:41]
	v_add_nc_u32_e32 v40, 0x2e4, v47
	v_add_co_u32 v4, vcc_lo, v6, v4
	s_wait_alu 0xfffd
	s_delay_alu instid0(VALU_DEP_4) | instskip(NEXT) | instid1(VALU_DEP_3)
	v_add_co_ci_u32_e32 v5, vcc_lo, v7, v5, vcc_lo
	v_lshlrev_b64_e32 v[52:53], 3, v[40:41]
	v_add_nc_u32_e32 v40, 0x384, v47
	v_add_co_u32 v44, vcc_lo, v6, v44
	s_wait_alu 0xfffd
	v_add_co_ci_u32_e32 v45, vcc_lo, v7, v45, vcc_lo
	v_add_co_u32 v48, vcc_lo, v6, v48
	s_wait_alu 0xfffd
	v_add_co_ci_u32_e32 v49, vcc_lo, v7, v49, vcc_lo
	;; [unrolled: 3-line block ×4, first 2 shown]
	s_wait_loadcnt 0x2
	v_dual_mul_f32 v62, v21, v33 :: v_dual_mul_f32 v63, v14, v35
	v_mul_f32_e32 v33, v17, v33
	v_lshlrev_b64_e32 v[54:55], 3, v[40:41]
	v_add_nc_u32_e32 v40, 0x424, v47
	s_wait_loadcnt 0x1
	v_dual_mul_f32 v35, v10, v35 :: v_dual_mul_f32 v64, v15, v37
	v_mul_f32_e32 v37, v11, v37
	v_dual_mul_f32 v65, v12, v39 :: v_dual_fmac_f32 v62, v17, v32
	v_lshlrev_b64_e32 v[56:57], 3, v[40:41]
	v_add_nc_u32_e32 v40, 0x4c4, v47
	v_add_co_u32 v54, vcc_lo, v6, v54
	s_wait_alu 0xfffd
	v_add_co_ci_u32_e32 v55, vcc_lo, v7, v55, vcc_lo
	s_delay_alu instid0(VALU_DEP_3) | instskip(SKIP_4) | instid1(VALU_DEP_3)
	v_lshlrev_b64_e32 v[58:59], 3, v[40:41]
	v_add_nc_u32_e32 v40, 0x564, v47
	v_add_co_u32 v56, vcc_lo, v6, v56
	s_wait_alu 0xfffd
	v_add_co_ci_u32_e32 v57, vcc_lo, v7, v57, vcc_lo
	v_lshlrev_b64_e32 v[60:61], 3, v[40:41]
	v_dual_fmac_f32 v63, v10, v34 :: v_dual_add_nc_u32 v40, 0x604, v47
	v_add_co_u32 v46, vcc_lo, v6, v58
	s_wait_alu 0xfffd
	v_add_co_ci_u32_e32 v47, vcc_lo, v7, v59, vcc_lo
	s_delay_alu instid0(VALU_DEP_3) | instskip(SKIP_4) | instid1(VALU_DEP_4)
	v_lshlrev_b64_e32 v[40:41], 3, v[40:41]
	v_add_co_u32 v58, vcc_lo, v6, v60
	s_wait_alu 0xfffd
	v_add_co_ci_u32_e32 v59, vcc_lo, v7, v61, vcc_lo
	v_mul_f32_e32 v60, v23, v29
	v_add_co_u32 v6, vcc_lo, v6, v40
	s_wait_alu 0xfffd
	v_add_co_ci_u32_e32 v7, vcc_lo, v7, v41, vcc_lo
	v_dual_mul_f32 v40, v3, v25 :: v_dual_mul_f32 v41, v22, v27
	v_mul_f32_e32 v25, v1, v25
	v_mul_f32_e32 v27, v18, v27
	;; [unrolled: 1-line block ×3, first 2 shown]
	s_delay_alu instid0(VALU_DEP_4)
	v_dual_mul_f32 v61, v20, v31 :: v_dual_fmac_f32 v40, v1, v24
	v_dual_mul_f32 v31, v16, v31 :: v_dual_fmac_f32 v60, v19, v28
	s_wait_loadcnt 0x0
	v_dual_mul_f32 v66, v13, v43 :: v_dual_fmac_f32 v65, v8, v38
	v_dual_mul_f32 v39, v8, v39 :: v_dual_fmac_f32 v64, v11, v36
	v_fma_f32 v1, v3, v24, -v25
	v_fmac_f32_e32 v41, v18, v26
	v_mul_f32_e32 v43, v9, v43
	v_fma_f32 v3, v22, v26, -v27
	v_fma_f32 v18, v23, v28, -v29
	v_fmac_f32_e32 v61, v16, v30
	v_fma_f32 v16, v20, v30, -v31
	v_fma_f32 v10, v14, v34, -v35
	v_dual_fmac_f32 v66, v9, v42 :: v_dual_sub_f32 v23, v63, v65
	v_fma_f32 v17, v21, v32, -v33
	v_fma_f32 v11, v15, v36, -v37
	;; [unrolled: 1-line block ×3, first 2 shown]
	v_add_f32_e32 v12, v0, v41
	v_fma_f32 v9, v13, v42, -v43
	v_add_f32_e32 v13, v61, v63
	v_dual_sub_f32 v15, v16, v10 :: v_dual_sub_f32 v20, v65, v63
	v_dual_sub_f32 v19, v41, v61 :: v_dual_add_f32 v24, v2, v3
	v_dual_add_f32 v21, v41, v65 :: v_dual_sub_f32 v28, v3, v16
	v_dual_sub_f32 v22, v61, v41 :: v_dual_add_f32 v25, v16, v10
	v_dual_sub_f32 v37, v66, v64 :: v_dual_add_f32 v42, v1, v18
	v_sub_f32_e32 v14, v3, v8
	v_dual_sub_f32 v26, v41, v65 :: v_dual_sub_f32 v29, v8, v10
	v_dual_sub_f32 v27, v61, v63 :: v_dual_add_f32 v30, v3, v8
	v_dual_sub_f32 v3, v16, v3 :: v_dual_sub_f32 v34, v18, v9
	v_dual_sub_f32 v31, v10, v8 :: v_dual_sub_f32 v36, v60, v62
	v_dual_add_f32 v32, v40, v60 :: v_dual_sub_f32 v35, v17, v11
	v_dual_add_f32 v33, v62, v64 :: v_dual_add_f32 v38, v60, v66
	v_dual_sub_f32 v41, v64, v66 :: v_dual_sub_f32 v68, v18, v17
	v_dual_add_f32 v43, v17, v11 :: v_dual_add_f32 v70, v18, v9
	v_dual_sub_f32 v67, v62, v64 :: v_dual_sub_f32 v18, v17, v18
	v_dual_sub_f32 v69, v9, v11 :: v_dual_add_f32 v12, v12, v61
	v_dual_sub_f32 v71, v11, v9 :: v_dual_add_f32 v16, v24, v16
	v_fma_f32 v61, -0.5, v13, v0
	v_dual_add_f32 v13, v19, v20 :: v_dual_fmac_f32 v0, -0.5, v21
	v_fma_f32 v25, -0.5, v25, v2
	v_dual_add_f32 v17, v42, v17 :: v_dual_add_f32 v12, v12, v63
	v_dual_sub_f32 v39, v62, v60 :: v_dual_sub_f32 v60, v60, v66
	v_dual_add_f32 v19, v22, v23 :: v_dual_add_f32 v20, v28, v29
	v_dual_fmac_f32 v2, -0.5, v30 :: v_dual_add_f32 v3, v3, v31
	s_delay_alu instid0(VALU_DEP_3)
	v_dual_add_f32 v21, v32, v62 :: v_dual_add_f32 v24, v39, v41
	v_fma_f32 v22, -0.5, v33, v40
	v_dual_add_f32 v23, v36, v37 :: v_dual_fmac_f32 v40, -0.5, v38
	v_fma_f32 v28, -0.5, v43, v1
	v_fmac_f32_e32 v1, -0.5, v70
	v_dual_fmamk_f32 v30, v14, 0xbf737871, v61 :: v_dual_fmamk_f32 v33, v27, 0xbf737871, v2
	v_dual_fmac_f32 v61, 0x3f737871, v14 :: v_dual_fmac_f32 v2, 0x3f737871, v27
	v_dual_fmamk_f32 v31, v15, 0x3f737871, v0 :: v_dual_add_f32 v10, v16, v10
	v_fmac_f32_e32 v0, 0xbf737871, v15
	v_dual_fmamk_f32 v32, v26, 0x3f737871, v25 :: v_dual_add_f32 v11, v17, v11
	v_dual_fmac_f32 v25, 0xbf737871, v26 :: v_dual_add_f32 v16, v21, v64
	v_dual_fmamk_f32 v21, v34, 0xbf737871, v22 :: v_dual_add_f32 v12, v12, v65
	v_fmac_f32_e32 v22, 0x3f737871, v34
	v_fmamk_f32 v17, v60, 0x3f737871, v28
	v_dual_fmac_f32 v28, 0xbf737871, v60 :: v_dual_add_f32 v11, v11, v9
	v_dual_fmac_f32 v30, 0xbf167918, v15 :: v_dual_fmac_f32 v31, 0xbf167918, v14
	v_dual_fmac_f32 v61, 0x3f167918, v15 :: v_dual_fmac_f32 v0, 0x3f167918, v14
	v_add_f32_e32 v14, v10, v8
	v_fmamk_f32 v36, v35, 0x3f737871, v40
	v_dual_fmac_f32 v40, 0xbf737871, v35 :: v_dual_fmamk_f32 v37, v67, 0xbf737871, v1
	v_dual_add_f32 v29, v68, v69 :: v_dual_add_f32 v18, v18, v71
	v_fmac_f32_e32 v1, 0x3f737871, v67
	s_delay_alu instid0(VALU_DEP_3) | instskip(NEXT) | instid1(VALU_DEP_4)
	v_dual_fmac_f32 v22, 0x3f167918, v35 :: v_dual_fmac_f32 v37, 0x3f167918, v60
	v_dual_fmac_f32 v40, 0x3f167918, v34 :: v_dual_fmac_f32 v17, 0x3f167918, v67
	;; [unrolled: 1-line block ×4, first 2 shown]
	v_dual_add_f32 v10, v16, v66 :: v_dual_fmac_f32 v21, 0xbf167918, v35
	s_delay_alu instid0(VALU_DEP_4)
	v_dual_fmac_f32 v22, 0x3e9e377a, v23 :: v_dual_fmac_f32 v17, 0x3e9e377a, v29
	v_dual_fmac_f32 v28, 0xbf167918, v67 :: v_dual_fmac_f32 v1, 0xbf167918, v60
	;; [unrolled: 1-line block ×4, first 2 shown]
	v_dual_add_f32 v9, v14, v11 :: v_dual_fmac_f32 v36, 0xbf167918, v34
	v_fmac_f32_e32 v21, 0x3e9e377a, v23
	v_mul_f32_e32 v3, 0xbf167918, v17
	v_dual_fmac_f32 v30, 0x3e9e377a, v13 :: v_dual_fmac_f32 v31, 0x3e9e377a, v19
	v_dual_fmac_f32 v61, 0x3e9e377a, v13 :: v_dual_fmac_f32 v0, 0x3e9e377a, v19
	v_fmac_f32_e32 v36, 0x3e9e377a, v24
	v_dual_fmac_f32 v40, 0x3e9e377a, v24 :: v_dual_fmac_f32 v37, 0x3e9e377a, v18
	v_dual_fmac_f32 v28, 0x3e9e377a, v29 :: v_dual_fmac_f32 v1, 0x3e9e377a, v18
	v_fmac_f32_e32 v3, 0x3f4f1bbd, v21
	v_dual_mul_f32 v27, 0x3f4f1bbd, v17 :: v_dual_add_f32 v8, v12, v10
	v_dual_sub_f32 v11, v14, v11 :: v_dual_sub_f32 v10, v12, v10
	s_delay_alu instid0(VALU_DEP_3) | instskip(NEXT) | instid1(VALU_DEP_3)
	v_dual_mul_f32 v23, 0xbf737871, v37 :: v_dual_add_f32 v12, v30, v3
	v_fmac_f32_e32 v27, 0x3f167918, v21
	v_mul_f32_e32 v24, 0xbf737871, v1
	s_delay_alu instid0(VALU_DEP_3) | instskip(SKIP_1) | instid1(VALU_DEP_4)
	v_fmac_f32_e32 v23, 0x3e9e377a, v36
	v_mul_f32_e32 v29, 0x3e9e377a, v37
	v_add_f32_e32 v13, v32, v27
	s_delay_alu instid0(VALU_DEP_4) | instskip(NEXT) | instid1(VALU_DEP_1)
	v_dual_mul_f32 v1, 0xbe9e377a, v1 :: v_dual_fmac_f32 v24, 0xbe9e377a, v40
	v_dual_add_f32 v14, v31, v23 :: v_dual_fmac_f32 v1, 0x3f737871, v40
	s_delay_alu instid0(VALU_DEP_2) | instskip(SKIP_2) | instid1(VALU_DEP_4)
	v_add_f32_e32 v16, v0, v24
	v_dual_fmac_f32 v29, 0x3f737871, v36 :: v_dual_sub_f32 v20, v30, v3
	v_mul_f32_e32 v26, 0xbf167918, v28
	v_dual_mul_f32 v28, 0xbf4f1bbd, v28 :: v_dual_add_f32 v17, v2, v1
	s_delay_alu instid0(VALU_DEP_3) | instskip(NEXT) | instid1(VALU_DEP_2)
	v_dual_add_f32 v15, v33, v29 :: v_dual_sub_f32 v0, v0, v24
	v_fmac_f32_e32 v28, 0x3f167918, v22
	s_delay_alu instid0(VALU_DEP_4) | instskip(NEXT) | instid1(VALU_DEP_2)
	v_dual_fmac_f32 v26, 0xbf4f1bbd, v22 :: v_dual_sub_f32 v21, v32, v27
	v_add_f32_e32 v19, v25, v28
	s_delay_alu instid0(VALU_DEP_2)
	v_add_f32_e32 v18, v61, v26
	v_sub_f32_e32 v22, v31, v23
	v_sub_f32_e32 v24, v61, v26
	;; [unrolled: 1-line block ×5, first 2 shown]
	s_clause 0x9
	global_store_b64 v[4:5], v[8:9], off
	global_store_b64 v[44:45], v[12:13], off
	;; [unrolled: 1-line block ×10, first 2 shown]
.LBB0_26:
	s_nop 0
	s_sendmsg sendmsg(MSG_DEALLOC_VGPRS)
	s_endpgm
	.section	.rodata,"a",@progbits
	.p2align	6, 0x0
	.amdhsa_kernel fft_rtc_back_len1600_factors_10_16_10_wgs_200_tpt_100_halfLds_sp_op_CI_CI_unitstride_sbrr_dirReg
		.amdhsa_group_segment_fixed_size 0
		.amdhsa_private_segment_fixed_size 0
		.amdhsa_kernarg_size 104
		.amdhsa_user_sgpr_count 2
		.amdhsa_user_sgpr_dispatch_ptr 0
		.amdhsa_user_sgpr_queue_ptr 0
		.amdhsa_user_sgpr_kernarg_segment_ptr 1
		.amdhsa_user_sgpr_dispatch_id 0
		.amdhsa_user_sgpr_private_segment_size 0
		.amdhsa_wavefront_size32 1
		.amdhsa_uses_dynamic_stack 0
		.amdhsa_enable_private_segment 0
		.amdhsa_system_sgpr_workgroup_id_x 1
		.amdhsa_system_sgpr_workgroup_id_y 0
		.amdhsa_system_sgpr_workgroup_id_z 0
		.amdhsa_system_sgpr_workgroup_info 0
		.amdhsa_system_vgpr_workitem_id 0
		.amdhsa_next_free_vgpr 95
		.amdhsa_next_free_sgpr 39
		.amdhsa_reserve_vcc 1
		.amdhsa_float_round_mode_32 0
		.amdhsa_float_round_mode_16_64 0
		.amdhsa_float_denorm_mode_32 3
		.amdhsa_float_denorm_mode_16_64 3
		.amdhsa_fp16_overflow 0
		.amdhsa_workgroup_processor_mode 1
		.amdhsa_memory_ordered 1
		.amdhsa_forward_progress 0
		.amdhsa_round_robin_scheduling 0
		.amdhsa_exception_fp_ieee_invalid_op 0
		.amdhsa_exception_fp_denorm_src 0
		.amdhsa_exception_fp_ieee_div_zero 0
		.amdhsa_exception_fp_ieee_overflow 0
		.amdhsa_exception_fp_ieee_underflow 0
		.amdhsa_exception_fp_ieee_inexact 0
		.amdhsa_exception_int_div_zero 0
	.end_amdhsa_kernel
	.text
.Lfunc_end0:
	.size	fft_rtc_back_len1600_factors_10_16_10_wgs_200_tpt_100_halfLds_sp_op_CI_CI_unitstride_sbrr_dirReg, .Lfunc_end0-fft_rtc_back_len1600_factors_10_16_10_wgs_200_tpt_100_halfLds_sp_op_CI_CI_unitstride_sbrr_dirReg
                                        ; -- End function
	.section	.AMDGPU.csdata,"",@progbits
; Kernel info:
; codeLenInByte = 9592
; NumSgprs: 41
; NumVgprs: 95
; ScratchSize: 0
; MemoryBound: 0
; FloatMode: 240
; IeeeMode: 1
; LDSByteSize: 0 bytes/workgroup (compile time only)
; SGPRBlocks: 5
; VGPRBlocks: 11
; NumSGPRsForWavesPerEU: 41
; NumVGPRsForWavesPerEU: 95
; Occupancy: 16
; WaveLimiterHint : 1
; COMPUTE_PGM_RSRC2:SCRATCH_EN: 0
; COMPUTE_PGM_RSRC2:USER_SGPR: 2
; COMPUTE_PGM_RSRC2:TRAP_HANDLER: 0
; COMPUTE_PGM_RSRC2:TGID_X_EN: 1
; COMPUTE_PGM_RSRC2:TGID_Y_EN: 0
; COMPUTE_PGM_RSRC2:TGID_Z_EN: 0
; COMPUTE_PGM_RSRC2:TIDIG_COMP_CNT: 0
	.text
	.p2alignl 7, 3214868480
	.fill 96, 4, 3214868480
	.type	__hip_cuid_a22d40a8e15f8428,@object ; @__hip_cuid_a22d40a8e15f8428
	.section	.bss,"aw",@nobits
	.globl	__hip_cuid_a22d40a8e15f8428
__hip_cuid_a22d40a8e15f8428:
	.byte	0                               ; 0x0
	.size	__hip_cuid_a22d40a8e15f8428, 1

	.ident	"AMD clang version 19.0.0git (https://github.com/RadeonOpenCompute/llvm-project roc-6.4.0 25133 c7fe45cf4b819c5991fe208aaa96edf142730f1d)"
	.section	".note.GNU-stack","",@progbits
	.addrsig
	.addrsig_sym __hip_cuid_a22d40a8e15f8428
	.amdgpu_metadata
---
amdhsa.kernels:
  - .args:
      - .actual_access:  read_only
        .address_space:  global
        .offset:         0
        .size:           8
        .value_kind:     global_buffer
      - .offset:         8
        .size:           8
        .value_kind:     by_value
      - .actual_access:  read_only
        .address_space:  global
        .offset:         16
        .size:           8
        .value_kind:     global_buffer
      - .actual_access:  read_only
        .address_space:  global
        .offset:         24
        .size:           8
        .value_kind:     global_buffer
      - .actual_access:  read_only
        .address_space:  global
        .offset:         32
        .size:           8
        .value_kind:     global_buffer
      - .offset:         40
        .size:           8
        .value_kind:     by_value
      - .actual_access:  read_only
        .address_space:  global
        .offset:         48
        .size:           8
        .value_kind:     global_buffer
      - .actual_access:  read_only
        .address_space:  global
        .offset:         56
        .size:           8
        .value_kind:     global_buffer
      - .offset:         64
        .size:           4
        .value_kind:     by_value
      - .actual_access:  read_only
        .address_space:  global
        .offset:         72
        .size:           8
        .value_kind:     global_buffer
      - .actual_access:  read_only
        .address_space:  global
        .offset:         80
        .size:           8
        .value_kind:     global_buffer
      - .actual_access:  read_only
        .address_space:  global
        .offset:         88
        .size:           8
        .value_kind:     global_buffer
      - .actual_access:  write_only
        .address_space:  global
        .offset:         96
        .size:           8
        .value_kind:     global_buffer
    .group_segment_fixed_size: 0
    .kernarg_segment_align: 8
    .kernarg_segment_size: 104
    .language:       OpenCL C
    .language_version:
      - 2
      - 0
    .max_flat_workgroup_size: 200
    .name:           fft_rtc_back_len1600_factors_10_16_10_wgs_200_tpt_100_halfLds_sp_op_CI_CI_unitstride_sbrr_dirReg
    .private_segment_fixed_size: 0
    .sgpr_count:     41
    .sgpr_spill_count: 0
    .symbol:         fft_rtc_back_len1600_factors_10_16_10_wgs_200_tpt_100_halfLds_sp_op_CI_CI_unitstride_sbrr_dirReg.kd
    .uniform_work_group_size: 1
    .uses_dynamic_stack: false
    .vgpr_count:     95
    .vgpr_spill_count: 0
    .wavefront_size: 32
    .workgroup_processor_mode: 1
amdhsa.target:   amdgcn-amd-amdhsa--gfx1201
amdhsa.version:
  - 1
  - 2
...

	.end_amdgpu_metadata
